;; amdgpu-corpus repo=ROCm/rocFFT kind=compiled arch=gfx1201 opt=O3
	.text
	.amdgcn_target "amdgcn-amd-amdhsa--gfx1201"
	.amdhsa_code_object_version 6
	.protected	fft_rtc_fwd_len1890_factors_2_3_3_3_7_5_wgs_126_tpt_126_halfLds_sp_ip_CI_unitstride_sbrr_dirReg ; -- Begin function fft_rtc_fwd_len1890_factors_2_3_3_3_7_5_wgs_126_tpt_126_halfLds_sp_ip_CI_unitstride_sbrr_dirReg
	.globl	fft_rtc_fwd_len1890_factors_2_3_3_3_7_5_wgs_126_tpt_126_halfLds_sp_ip_CI_unitstride_sbrr_dirReg
	.p2align	8
	.type	fft_rtc_fwd_len1890_factors_2_3_3_3_7_5_wgs_126_tpt_126_halfLds_sp_ip_CI_unitstride_sbrr_dirReg,@function
fft_rtc_fwd_len1890_factors_2_3_3_3_7_5_wgs_126_tpt_126_halfLds_sp_ip_CI_unitstride_sbrr_dirReg: ; @fft_rtc_fwd_len1890_factors_2_3_3_3_7_5_wgs_126_tpt_126_halfLds_sp_ip_CI_unitstride_sbrr_dirReg
; %bb.0:
	s_clause 0x2
	s_load_b128 s[4:7], s[0:1], 0x0
	s_load_b64 s[8:9], s[0:1], 0x50
	s_load_b64 s[10:11], s[0:1], 0x18
	v_mul_u32_u24_e32 v1, 0x209, v0
	v_mov_b32_e32 v3, 0
	s_delay_alu instid0(VALU_DEP_2) | instskip(NEXT) | instid1(VALU_DEP_1)
	v_lshrrev_b32_e32 v1, 16, v1
	v_add_nc_u32_e32 v5, ttmp9, v1
	v_mov_b32_e32 v1, 0
	v_mov_b32_e32 v2, 0
	;; [unrolled: 1-line block ×3, first 2 shown]
	s_wait_kmcnt 0x0
	v_cmp_lt_u64_e64 s2, s[6:7], 2
	s_delay_alu instid0(VALU_DEP_1)
	s_and_b32 vcc_lo, exec_lo, s2
	s_cbranch_vccnz .LBB0_8
; %bb.1:
	s_load_b64 s[2:3], s[0:1], 0x10
	v_mov_b32_e32 v1, 0
	v_mov_b32_e32 v2, 0
	s_add_nc_u64 s[12:13], s[10:11], 8
	s_mov_b64 s[14:15], 1
	s_wait_kmcnt 0x0
	s_add_nc_u64 s[16:17], s[2:3], 8
	s_mov_b32 s3, 0
.LBB0_2:                                ; =>This Inner Loop Header: Depth=1
	s_load_b64 s[18:19], s[16:17], 0x0
                                        ; implicit-def: $vgpr7_vgpr8
	s_mov_b32 s2, exec_lo
	s_wait_kmcnt 0x0
	v_or_b32_e32 v4, s19, v6
	s_delay_alu instid0(VALU_DEP_1)
	v_cmpx_ne_u64_e32 0, v[3:4]
	s_wait_alu 0xfffe
	s_xor_b32 s20, exec_lo, s2
	s_cbranch_execz .LBB0_4
; %bb.3:                                ;   in Loop: Header=BB0_2 Depth=1
	s_cvt_f32_u32 s2, s18
	s_cvt_f32_u32 s21, s19
	s_sub_nc_u64 s[24:25], 0, s[18:19]
	s_wait_alu 0xfffe
	s_delay_alu instid0(SALU_CYCLE_1) | instskip(SKIP_1) | instid1(SALU_CYCLE_2)
	s_fmamk_f32 s2, s21, 0x4f800000, s2
	s_wait_alu 0xfffe
	v_s_rcp_f32 s2, s2
	s_delay_alu instid0(TRANS32_DEP_1) | instskip(SKIP_1) | instid1(SALU_CYCLE_2)
	s_mul_f32 s2, s2, 0x5f7ffffc
	s_wait_alu 0xfffe
	s_mul_f32 s21, s2, 0x2f800000
	s_wait_alu 0xfffe
	s_delay_alu instid0(SALU_CYCLE_2) | instskip(SKIP_1) | instid1(SALU_CYCLE_2)
	s_trunc_f32 s21, s21
	s_wait_alu 0xfffe
	s_fmamk_f32 s2, s21, 0xcf800000, s2
	s_cvt_u32_f32 s23, s21
	s_wait_alu 0xfffe
	s_delay_alu instid0(SALU_CYCLE_1) | instskip(SKIP_1) | instid1(SALU_CYCLE_2)
	s_cvt_u32_f32 s22, s2
	s_wait_alu 0xfffe
	s_mul_u64 s[26:27], s[24:25], s[22:23]
	s_wait_alu 0xfffe
	s_mul_hi_u32 s29, s22, s27
	s_mul_i32 s28, s22, s27
	s_mul_hi_u32 s2, s22, s26
	s_mul_i32 s30, s23, s26
	s_wait_alu 0xfffe
	s_add_nc_u64 s[28:29], s[2:3], s[28:29]
	s_mul_hi_u32 s21, s23, s26
	s_mul_hi_u32 s31, s23, s27
	s_add_co_u32 s2, s28, s30
	s_wait_alu 0xfffe
	s_add_co_ci_u32 s2, s29, s21
	s_mul_i32 s26, s23, s27
	s_add_co_ci_u32 s27, s31, 0
	s_wait_alu 0xfffe
	s_add_nc_u64 s[26:27], s[2:3], s[26:27]
	s_wait_alu 0xfffe
	v_add_co_u32 v4, s2, s22, s26
	s_delay_alu instid0(VALU_DEP_1) | instskip(SKIP_1) | instid1(VALU_DEP_1)
	s_cmp_lg_u32 s2, 0
	s_add_co_ci_u32 s23, s23, s27
	v_readfirstlane_b32 s22, v4
	s_wait_alu 0xfffe
	s_delay_alu instid0(VALU_DEP_1)
	s_mul_u64 s[24:25], s[24:25], s[22:23]
	s_wait_alu 0xfffe
	s_mul_hi_u32 s27, s22, s25
	s_mul_i32 s26, s22, s25
	s_mul_hi_u32 s2, s22, s24
	s_mul_i32 s28, s23, s24
	s_wait_alu 0xfffe
	s_add_nc_u64 s[26:27], s[2:3], s[26:27]
	s_mul_hi_u32 s21, s23, s24
	s_mul_hi_u32 s22, s23, s25
	s_wait_alu 0xfffe
	s_add_co_u32 s2, s26, s28
	s_add_co_ci_u32 s2, s27, s21
	s_mul_i32 s24, s23, s25
	s_add_co_ci_u32 s25, s22, 0
	s_wait_alu 0xfffe
	s_add_nc_u64 s[24:25], s[2:3], s[24:25]
	s_wait_alu 0xfffe
	v_add_co_u32 v4, s2, v4, s24
	s_delay_alu instid0(VALU_DEP_1) | instskip(SKIP_1) | instid1(VALU_DEP_1)
	s_cmp_lg_u32 s2, 0
	s_add_co_ci_u32 s2, s23, s25
	v_mul_hi_u32 v13, v5, v4
	s_wait_alu 0xfffe
	v_mad_co_u64_u32 v[7:8], null, v5, s2, 0
	v_mad_co_u64_u32 v[9:10], null, v6, v4, 0
	;; [unrolled: 1-line block ×3, first 2 shown]
	s_delay_alu instid0(VALU_DEP_3) | instskip(SKIP_1) | instid1(VALU_DEP_4)
	v_add_co_u32 v4, vcc_lo, v13, v7
	s_wait_alu 0xfffd
	v_add_co_ci_u32_e32 v7, vcc_lo, 0, v8, vcc_lo
	s_delay_alu instid0(VALU_DEP_2) | instskip(SKIP_1) | instid1(VALU_DEP_2)
	v_add_co_u32 v4, vcc_lo, v4, v9
	s_wait_alu 0xfffd
	v_add_co_ci_u32_e32 v4, vcc_lo, v7, v10, vcc_lo
	s_wait_alu 0xfffd
	v_add_co_ci_u32_e32 v7, vcc_lo, 0, v12, vcc_lo
	s_delay_alu instid0(VALU_DEP_2) | instskip(SKIP_1) | instid1(VALU_DEP_2)
	v_add_co_u32 v4, vcc_lo, v4, v11
	s_wait_alu 0xfffd
	v_add_co_ci_u32_e32 v9, vcc_lo, 0, v7, vcc_lo
	s_delay_alu instid0(VALU_DEP_2) | instskip(SKIP_1) | instid1(VALU_DEP_3)
	v_mul_lo_u32 v10, s19, v4
	v_mad_co_u64_u32 v[7:8], null, s18, v4, 0
	v_mul_lo_u32 v11, s18, v9
	s_delay_alu instid0(VALU_DEP_2) | instskip(NEXT) | instid1(VALU_DEP_2)
	v_sub_co_u32 v7, vcc_lo, v5, v7
	v_add3_u32 v8, v8, v11, v10
	s_delay_alu instid0(VALU_DEP_1) | instskip(SKIP_1) | instid1(VALU_DEP_1)
	v_sub_nc_u32_e32 v10, v6, v8
	s_wait_alu 0xfffd
	v_subrev_co_ci_u32_e64 v10, s2, s19, v10, vcc_lo
	v_add_co_u32 v11, s2, v4, 2
	s_wait_alu 0xf1ff
	v_add_co_ci_u32_e64 v12, s2, 0, v9, s2
	v_sub_co_u32 v13, s2, v7, s18
	v_sub_co_ci_u32_e32 v8, vcc_lo, v6, v8, vcc_lo
	s_wait_alu 0xf1ff
	v_subrev_co_ci_u32_e64 v10, s2, 0, v10, s2
	s_delay_alu instid0(VALU_DEP_3) | instskip(NEXT) | instid1(VALU_DEP_3)
	v_cmp_le_u32_e32 vcc_lo, s18, v13
	v_cmp_eq_u32_e64 s2, s19, v8
	s_wait_alu 0xfffd
	v_cndmask_b32_e64 v13, 0, -1, vcc_lo
	v_cmp_le_u32_e32 vcc_lo, s19, v10
	s_wait_alu 0xfffd
	v_cndmask_b32_e64 v14, 0, -1, vcc_lo
	v_cmp_le_u32_e32 vcc_lo, s18, v7
	;; [unrolled: 3-line block ×3, first 2 shown]
	s_wait_alu 0xfffd
	v_cndmask_b32_e64 v15, 0, -1, vcc_lo
	v_cmp_eq_u32_e32 vcc_lo, s19, v10
	s_wait_alu 0xf1ff
	s_delay_alu instid0(VALU_DEP_2)
	v_cndmask_b32_e64 v7, v15, v7, s2
	s_wait_alu 0xfffd
	v_cndmask_b32_e32 v10, v14, v13, vcc_lo
	v_add_co_u32 v13, vcc_lo, v4, 1
	s_wait_alu 0xfffd
	v_add_co_ci_u32_e32 v14, vcc_lo, 0, v9, vcc_lo
	s_delay_alu instid0(VALU_DEP_3) | instskip(SKIP_2) | instid1(VALU_DEP_3)
	v_cmp_ne_u32_e32 vcc_lo, 0, v10
	s_wait_alu 0xfffd
	v_cndmask_b32_e32 v10, v13, v11, vcc_lo
	v_cndmask_b32_e32 v8, v14, v12, vcc_lo
	v_cmp_ne_u32_e32 vcc_lo, 0, v7
	s_wait_alu 0xfffd
	s_delay_alu instid0(VALU_DEP_2)
	v_dual_cndmask_b32 v7, v4, v10 :: v_dual_cndmask_b32 v8, v9, v8
.LBB0_4:                                ;   in Loop: Header=BB0_2 Depth=1
	s_wait_alu 0xfffe
	s_and_not1_saveexec_b32 s2, s20
	s_cbranch_execz .LBB0_6
; %bb.5:                                ;   in Loop: Header=BB0_2 Depth=1
	v_cvt_f32_u32_e32 v4, s18
	s_sub_co_i32 s20, 0, s18
	s_delay_alu instid0(VALU_DEP_1) | instskip(NEXT) | instid1(TRANS32_DEP_1)
	v_rcp_iflag_f32_e32 v4, v4
	v_mul_f32_e32 v4, 0x4f7ffffe, v4
	s_delay_alu instid0(VALU_DEP_1) | instskip(SKIP_1) | instid1(VALU_DEP_1)
	v_cvt_u32_f32_e32 v4, v4
	s_wait_alu 0xfffe
	v_mul_lo_u32 v7, s20, v4
	s_delay_alu instid0(VALU_DEP_1) | instskip(NEXT) | instid1(VALU_DEP_1)
	v_mul_hi_u32 v7, v4, v7
	v_add_nc_u32_e32 v4, v4, v7
	s_delay_alu instid0(VALU_DEP_1) | instskip(NEXT) | instid1(VALU_DEP_1)
	v_mul_hi_u32 v4, v5, v4
	v_mul_lo_u32 v7, v4, s18
	v_add_nc_u32_e32 v8, 1, v4
	s_delay_alu instid0(VALU_DEP_2) | instskip(NEXT) | instid1(VALU_DEP_1)
	v_sub_nc_u32_e32 v7, v5, v7
	v_subrev_nc_u32_e32 v9, s18, v7
	v_cmp_le_u32_e32 vcc_lo, s18, v7
	s_wait_alu 0xfffd
	s_delay_alu instid0(VALU_DEP_2) | instskip(NEXT) | instid1(VALU_DEP_1)
	v_dual_cndmask_b32 v7, v7, v9 :: v_dual_cndmask_b32 v4, v4, v8
	v_cmp_le_u32_e32 vcc_lo, s18, v7
	s_delay_alu instid0(VALU_DEP_2) | instskip(SKIP_1) | instid1(VALU_DEP_1)
	v_add_nc_u32_e32 v8, 1, v4
	s_wait_alu 0xfffd
	v_dual_cndmask_b32 v7, v4, v8 :: v_dual_mov_b32 v8, v3
.LBB0_6:                                ;   in Loop: Header=BB0_2 Depth=1
	s_wait_alu 0xfffe
	s_or_b32 exec_lo, exec_lo, s2
	s_load_b64 s[20:21], s[12:13], 0x0
	s_delay_alu instid0(VALU_DEP_1)
	v_mul_lo_u32 v4, v8, s18
	v_mul_lo_u32 v11, v7, s19
	v_mad_co_u64_u32 v[9:10], null, v7, s18, 0
	s_add_nc_u64 s[14:15], s[14:15], 1
	s_add_nc_u64 s[12:13], s[12:13], 8
	s_wait_alu 0xfffe
	v_cmp_ge_u64_e64 s2, s[14:15], s[6:7]
	s_add_nc_u64 s[16:17], s[16:17], 8
	s_delay_alu instid0(VALU_DEP_2) | instskip(NEXT) | instid1(VALU_DEP_3)
	v_add3_u32 v4, v10, v11, v4
	v_sub_co_u32 v5, vcc_lo, v5, v9
	s_wait_alu 0xfffd
	s_delay_alu instid0(VALU_DEP_2) | instskip(SKIP_3) | instid1(VALU_DEP_2)
	v_sub_co_ci_u32_e32 v4, vcc_lo, v6, v4, vcc_lo
	s_and_b32 vcc_lo, exec_lo, s2
	s_wait_kmcnt 0x0
	v_mul_lo_u32 v6, s21, v5
	v_mul_lo_u32 v4, s20, v4
	v_mad_co_u64_u32 v[1:2], null, s20, v5, v[1:2]
	s_delay_alu instid0(VALU_DEP_1)
	v_add3_u32 v2, v6, v2, v4
	s_wait_alu 0xfffe
	s_cbranch_vccnz .LBB0_9
; %bb.7:                                ;   in Loop: Header=BB0_2 Depth=1
	v_dual_mov_b32 v5, v7 :: v_dual_mov_b32 v6, v8
	s_branch .LBB0_2
.LBB0_8:
	v_dual_mov_b32 v8, v6 :: v_dual_mov_b32 v7, v5
.LBB0_9:
	s_lshl_b64 s[2:3], s[6:7], 3
	v_mul_hi_u32 v5, 0x2082083, v0
	s_wait_alu 0xfffe
	s_add_nc_u64 s[2:3], s[10:11], s[2:3]
                                        ; implicit-def: $vgpr15
                                        ; implicit-def: $vgpr21
                                        ; implicit-def: $vgpr23
                                        ; implicit-def: $vgpr11
                                        ; implicit-def: $vgpr25
                                        ; implicit-def: $vgpr13
                                        ; implicit-def: $vgpr27
                                        ; implicit-def: $vgpr31
                                        ; implicit-def: $vgpr29
                                        ; implicit-def: $vgpr35
                                        ; implicit-def: $vgpr33
                                        ; implicit-def: $vgpr17
                                        ; implicit-def: $vgpr19
	s_load_b64 s[2:3], s[2:3], 0x0
	s_load_b64 s[0:1], s[0:1], 0x20
	s_wait_kmcnt 0x0
	v_mul_lo_u32 v6, s2, v8
	v_mul_lo_u32 v9, s3, v7
	v_mad_co_u64_u32 v[3:4], null, s2, v7, v[1:2]
	v_mul_u32_u24_e32 v1, 0x7e, v5
	v_cmp_gt_u64_e32 vcc_lo, s[0:1], v[7:8]
	v_mov_b32_e32 v5, 0
                                        ; implicit-def: $vgpr7
	s_delay_alu instid0(VALU_DEP_3) | instskip(SKIP_1) | instid1(VALU_DEP_1)
	v_sub_nc_u32_e32 v2, v0, v1
	v_add3_u32 v4, v9, v4, v6
                                        ; implicit-def: $vgpr9
	v_lshlrev_b64_e32 v[0:1], 3, v[3:4]
	v_mov_b32_e32 v3, 0
	s_and_saveexec_b32 s1, vcc_lo
	s_cbranch_execz .LBB0_13
; %bb.10:
	v_mov_b32_e32 v3, 0
	s_delay_alu instid0(VALU_DEP_3) | instskip(SKIP_2) | instid1(VALU_DEP_3)
	v_add_co_u32 v6, s0, s8, v0
	s_wait_alu 0xf1ff
	v_add_co_ci_u32_e64 v7, s0, s9, v1, s0
	v_lshlrev_b64_e32 v[4:5], 3, v[2:3]
	s_mov_b32 s2, exec_lo
                                        ; implicit-def: $vgpr34
	s_delay_alu instid0(VALU_DEP_1) | instskip(SKIP_1) | instid1(VALU_DEP_2)
	v_add_co_u32 v35, s0, v6, v4
	s_wait_alu 0xf1ff
	v_add_co_ci_u32_e64 v36, s0, v7, v5, s0
	v_mov_b32_e32 v5, v3
	s_clause 0xd
	global_load_b64 v[6:7], v[35:36], off
	global_load_b64 v[8:9], v[35:36], off offset:1008
	global_load_b64 v[20:21], v[35:36], off offset:2016
	;; [unrolled: 1-line block ×13, first 2 shown]
	v_cmpx_gt_u32_e32 63, v2
	s_cbranch_execz .LBB0_12
; %bb.11:
	s_clause 0x1
	global_load_b64 v[4:5], v[35:36], off offset:7056
	global_load_b64 v[34:35], v[35:36], off offset:14616
	s_wait_loadcnt 0x1
	v_mov_b32_e32 v3, v4
.LBB0_12:
	s_wait_alu 0xfffe
	s_or_b32 exec_lo, exec_lo, s2
.LBB0_13:
	s_wait_alu 0xfffe
	s_or_b32 exec_lo, exec_lo, s1
	v_lshl_add_u32 v45, v2, 3, 0
	s_wait_loadcnt 0x3
	v_sub_f32_e32 v49, v6, v14
	s_wait_loadcnt 0x0
	v_dual_sub_f32 v53, v20, v16 :: v_dual_sub_f32 v4, v3, v34
	v_dual_sub_f32 v57, v24, v12 :: v_dual_add_nc_u32 v38, 0x7e, v2
	v_dual_sub_f32 v61, v28, v32 :: v_dual_add_nc_u32 v40, 0xfc, v2
	v_add_nc_u32_e32 v36, 0x17a, v2
	v_add_nc_u32_e32 v34, 0x1f8, v2
	;; [unrolled: 1-line block ×3, first 2 shown]
	v_fma_f32 v48, v6, 2.0, -v49
	v_add_nc_u32_e32 v6, 0x372, v2
	v_sub_f32_e32 v51, v8, v18
	v_sub_f32_e32 v55, v22, v10
	;; [unrolled: 1-line block ×3, first 2 shown]
	v_lshl_add_u32 v44, v38, 3, 0
	v_lshl_add_u32 v43, v40, 3, 0
	;; [unrolled: 1-line block ×4, first 2 shown]
	v_add_nc_u32_e32 v47, 0x13b0, v45
	v_cmp_gt_u32_e64 s0, 63, v2
	v_lshl_add_u32 v41, v6, 3, 0
	v_fma_f32 v50, v8, 2.0, -v51
	v_add_nc_u32_e32 v8, 0x1000, v45
	v_fma_f32 v52, v20, 2.0, -v53
	v_fma_f32 v54, v22, 2.0, -v55
	;; [unrolled: 1-line block ×5, first 2 shown]
	ds_store_b64 v45, v[48:49]
	ds_store_b64 v44, v[50:51]
	;; [unrolled: 1-line block ×5, first 2 shown]
	ds_store_2addr_b64 v8, v[58:59], v[60:61] offset0:118 offset1:244
	s_and_saveexec_b32 s1, s0
	s_cbranch_execz .LBB0_15
; %bb.14:
	v_fma_f32 v3, v3, 2.0, -v4
	ds_store_b64 v41, v[3:4]
.LBB0_15:
	s_wait_alu 0xfffe
	s_or_b32 exec_lo, exec_lo, s1
	v_lshl_add_u32 v3, v2, 2, 0
	v_sub_f32_e32 v49, v7, v15
	v_sub_f32_e32 v51, v9, v19
	;; [unrolled: 1-line block ×3, first 2 shown]
	s_delay_alu instid0(VALU_DEP_4)
	v_dual_sub_f32 v53, v21, v17 :: v_dual_add_nc_u32 v24, 0x600, v3
	v_add_nc_u32_e32 v32, 0x1200, v3
	v_dual_sub_f32 v61, v29, v33 :: v_dual_add_nc_u32 v30, 0xa00, v3
	v_add_nc_u32_e32 v22, 0x200, v3
	v_add_nc_u32_e32 v28, 0x1600, v3
	;; [unrolled: 1-line block ×3, first 2 shown]
	v_fma_f32 v48, v7, 2.0, -v49
	v_fma_f32 v50, v9, 2.0, -v51
	v_sub_f32_e32 v55, v23, v11
	global_wb scope:SCOPE_SE
	s_wait_dscnt 0x0
	s_barrier_signal -1
	s_barrier_wait -1
	global_inv scope:SCOPE_SE
	ds_load_2addr_b32 v[9:10], v3 offset1:126
	ds_load_2addr_b32 v[7:8], v24 offset0:120 offset1:246
	ds_load_2addr_b32 v[19:20], v32 offset0:108 offset1:234
	;; [unrolled: 1-line block ×6, first 2 shown]
	ds_load_b32 v37, v3 offset:7056
	v_sub_f32_e32 v59, v27, v31
	v_sub_f32_e32 v6, v5, v35
	v_fma_f32 v52, v21, 2.0, -v53
	v_fma_f32 v54, v23, 2.0, -v55
	;; [unrolled: 1-line block ×5, first 2 shown]
	global_wb scope:SCOPE_SE
	s_wait_dscnt 0x0
	s_barrier_signal -1
	s_barrier_wait -1
	global_inv scope:SCOPE_SE
	ds_store_b64 v45, v[48:49]
	ds_store_b64 v44, v[50:51]
	ds_store_b64 v43, v[52:53]
	ds_store_b64 v42, v[54:55]
	ds_store_b64 v39, v[56:57]
	ds_store_b64 v47, v[58:59]
	ds_store_b64 v46, v[60:61]
	s_and_saveexec_b32 s1, s0
	s_cbranch_execz .LBB0_17
; %bb.16:
	v_fma_f32 v5, v5, 2.0, -v6
	ds_store_b64 v41, v[5:6]
.LBB0_17:
	s_wait_alu 0xfffe
	s_or_b32 exec_lo, exec_lo, s1
	v_and_b32_e32 v21, 1, v2
	global_wb scope:SCOPE_SE
	s_wait_dscnt 0x0
	s_barrier_signal -1
	s_barrier_wait -1
	global_inv scope:SCOPE_SE
	v_lshlrev_b32_e32 v5, 4, v21
	v_lshrrev_b32_e32 v39, 1, v40
	v_lshrrev_b32_e32 v25, 1, v2
	;; [unrolled: 1-line block ×4, first 2 shown]
	global_load_b128 v[42:45], v5, s[4:5]
	ds_load_2addr_b32 v[46:47], v3 offset1:126
	ds_load_2addr_b32 v[48:49], v24 offset0:120 offset1:246
	ds_load_2addr_b32 v[50:51], v32 offset0:108 offset1:234
	;; [unrolled: 1-line block ×6, first 2 shown]
	ds_load_b32 v23, v3 offset:7056
	v_and_b32_e32 v5, 0xff, v38
	v_and_b32_e32 v33, 0xffff, v40
	v_mul_u32_u24_e32 v60, 6, v39
	v_lshrrev_b32_e32 v31, 1, v34
	v_and_b32_e32 v41, 0xff, v2
	v_mul_u32_u24_e32 v25, 6, v25
	v_mul_u32_u24_e32 v27, 6, v27
	v_or_b32_e32 v60, v60, v21
	v_mul_u32_u24_e32 v29, 6, v29
	v_mul_u32_u24_e32 v31, 6, v31
	v_and_b32_e32 v64, 0xffff, v34
	v_and_b32_e32 v35, 0xffff, v36
	v_lshl_add_u32 v69, v60, 2, 0
	global_wb scope:SCOPE_SE
	s_wait_loadcnt_dscnt 0x0
	s_barrier_signal -1
	s_barrier_wait -1
	global_inv scope:SCOPE_SE
	v_cmp_gt_u32_e64 s0, 18, v2
	v_mul_f32_e32 v82, v56, v45
	v_mul_f32_e32 v78, v51, v45
	v_mul_lo_u16 v62, 0xab, v5
	v_mul_f32_e32 v80, v53, v43
	v_mul_u32_u24_e32 v63, 0xaaab, v33
	v_mul_f32_e32 v76, v52, v43
	v_dual_mul_f32 v79, v20, v45 :: v_dual_mul_f32 v88, v59, v43
	v_lshrrev_b16 v67, 10, v62
	s_delay_alu instid0(VALU_DEP_4)
	v_lshrrev_b32_e32 v68, 18, v63
	v_fma_f32 v20, v20, v44, -v78
	v_mul_u32_u24_e32 v65, 0xaaab, v35
	v_mul_f32_e32 v84, v58, v43
	v_mul_lo_u16 v62, v67, 6
	v_mul_lo_u16 v63, v68, 6
	v_mul_f32_e32 v86, v57, v45
	v_lshrrev_b32_e32 v65, 18, v65
	v_mul_f32_e32 v77, v17, v43
	v_sub_nc_u16 v62, v38, v62
	v_sub_nc_u16 v60, v40, v63
	v_fma_f32 v17, v17, v42, -v76
	v_mul_lo_u16 v72, v65, 6
	v_mul_f32_e32 v63, v19, v45
	v_dual_mul_f32 v62, v50, v45 :: v_dual_and_b32 v71, 0xff, v62
	v_mul_lo_u16 v61, 0xab, v41
	v_dual_mul_f32 v60, v49, v43 :: v_dual_and_b32 v73, 0xffff, v60
	v_or_b32_e32 v25, v25, v21
	v_or_b32_e32 v27, v27, v21
	;; [unrolled: 1-line block ×4, first 2 shown]
	v_lshrrev_b16 v31, 10, v61
	v_fma_f32 v19, v19, v44, -v62
	v_lshlrev_b32_e32 v75, 4, v71
	v_lshl_add_u32 v25, v25, 2, 0
	v_lshl_add_u32 v27, v27, 2, 0
	v_mul_lo_u16 v61, v31, 6
	v_lshl_add_u32 v29, v29, 2, 0
	v_lshl_add_u32 v21, v21, 2, 0
	s_delay_alu instid0(VALU_DEP_3) | instskip(NEXT) | instid1(VALU_DEP_1)
	v_sub_nc_u16 v61, v2, v61
	v_dual_mul_f32 v61, v8, v43 :: v_dual_and_b32 v70, 0xff, v61
	v_fma_f32 v8, v8, v42, -v60
	v_mul_f32_e32 v83, v15, v45
	v_fma_f32 v15, v15, v44, -v82
	s_delay_alu instid0(VALU_DEP_4) | instskip(SKIP_1) | instid1(VALU_DEP_4)
	v_lshlrev_b32_e32 v74, 4, v70
	v_mul_u32_u24_e32 v66, 0xaaab, v64
	v_fmac_f32_e32 v83, v56, v44
	v_fmac_f32_e32 v77, v52, v42
	v_mul_f32_e32 v81, v18, v43
	v_fma_f32 v18, v18, v42, -v80
	v_mul_f32_e32 v85, v13, v43
	v_fma_f32 v13, v13, v42, -v84
	;; [unrolled: 2-line block ×3, first 2 shown]
	v_dual_add_f32 v56, v47, v77 :: v_dual_fmac_f32 v61, v49, v42
	s_delay_alu instid0(VALU_DEP_3) | instskip(SKIP_4) | instid1(VALU_DEP_4)
	v_dual_add_f32 v76, v12, v13 :: v_dual_fmac_f32 v43, v59, v42
	v_fmac_f32_e32 v85, v58, v42
	v_fmac_f32_e32 v81, v53, v42
	v_dual_add_f32 v58, v11, v18 :: v_dual_add_f32 v59, v18, v15
	v_sub_f32_e32 v18, v18, v15
	v_add_f32_e32 v80, v55, v85
	v_dual_add_f32 v82, v7, v14 :: v_dual_fmac_f32 v63, v50, v44
	v_dual_sub_f32 v60, v81, v83 :: v_dual_mul_f32 v87, v16, v45
	v_mul_f32_e32 v89, v23, v45
	v_mul_f32_e32 v45, v37, v45
	s_delay_alu instid0(VALU_DEP_4)
	v_add_f32_e32 v50, v61, v63
	v_fma_f32 v16, v16, v44, -v86
	v_add_f32_e32 v42, v8, v19
	v_fma_f32 v37, v37, v44, -v89
	v_fmac_f32_e32 v87, v57, v44
	v_add_f32_e32 v52, v17, v20
	v_add_f32_e32 v62, v81, v83
	;; [unrolled: 1-line block ×4, first 2 shown]
	v_sub_f32_e32 v14, v14, v37
	v_dual_add_f32 v86, v48, v43 :: v_dual_fmac_f32 v79, v51, v44
	v_dual_sub_f32 v78, v85, v87 :: v_dual_fmac_f32 v45, v23, v44
	v_dual_sub_f32 v44, v61, v63 :: v_dual_add_f32 v51, v10, v17
	v_dual_fmac_f32 v10, -0.5, v52 :: v_dual_add_f32 v49, v46, v61
	s_delay_alu instid0(VALU_DEP_4)
	v_sub_f32_e32 v53, v77, v79
	v_add_f32_e32 v57, v77, v79
	v_add_f32_e32 v61, v54, v81
	v_add_f32_e32 v77, v13, v16
	v_dual_add_f32 v23, v9, v8 :: v_dual_sub_f32 v8, v8, v19
	v_sub_f32_e32 v13, v13, v16
	v_fma_f32 v9, -0.5, v42, v9
	v_fma_f32 v42, -0.5, v50, v46
	v_add_f32_e32 v46, v56, v79
	v_fma_f32 v54, -0.5, v62, v54
	v_dual_add_f32 v81, v85, v87 :: v_dual_add_f32 v16, v76, v16
	v_sub_f32_e32 v85, v43, v45
	v_add_f32_e32 v43, v43, v45
	v_dual_sub_f32 v17, v17, v20 :: v_dual_add_f32 v76, v80, v87
	v_fmac_f32_e32 v7, -0.5, v84
	v_fmamk_f32 v79, v18, 0xbf5db3d7, v54
	s_delay_alu instid0(VALU_DEP_4)
	v_dual_fmac_f32 v48, -0.5, v43 :: v_dual_fmamk_f32 v43, v44, 0x3f5db3d7, v9
	v_dual_fmac_f32 v9, 0xbf5db3d7, v44 :: v_dual_fmamk_f32 v44, v8, 0xbf5db3d7, v42
	v_dual_fmac_f32 v47, -0.5, v57 :: v_dual_fmac_f32 v42, 0x3f5db3d7, v8
	v_fma_f32 v11, -0.5, v59, v11
	v_fmamk_f32 v8, v53, 0x3f5db3d7, v10
	v_fmac_f32_e32 v10, 0xbf5db3d7, v53
	v_fmac_f32_e32 v12, -0.5, v77
	v_dual_fmac_f32 v54, 0x3f5db3d7, v18 :: v_dual_fmac_f32 v55, -0.5, v81
	v_add_f32_e32 v19, v23, v19
	v_dual_add_f32 v20, v51, v20 :: v_dual_add_f32 v23, v49, v63
	v_fmamk_f32 v80, v14, 0xbf5db3d7, v48
	v_fmac_f32_e32 v48, 0x3f5db3d7, v14
	v_fmamk_f32 v77, v17, 0xbf5db3d7, v47
	v_fmac_f32_e32 v47, 0x3f5db3d7, v17
	v_add_f32_e32 v49, v61, v83
	v_add_f32_e32 v37, v82, v37
	v_fmamk_f32 v17, v60, 0x3f5db3d7, v11
	v_fmac_f32_e32 v11, 0xbf5db3d7, v60
	v_fmamk_f32 v18, v78, 0x3f5db3d7, v12
	v_fmac_f32_e32 v12, 0xbf5db3d7, v78
	;; [unrolled: 2-line block ×4, first 2 shown]
	ds_store_2addr_b32 v25, v19, v43 offset1:2
	ds_store_b32 v25, v9 offset:16
	ds_store_2addr_b32 v27, v20, v8 offset1:2
	ds_store_b32 v27, v10 offset:16
	;; [unrolled: 2-line block ×5, first 2 shown]
	global_wb scope:SCOPE_SE
	s_wait_dscnt 0x0
	s_barrier_signal -1
	s_barrier_wait -1
	global_inv scope:SCOPE_SE
	ds_load_2addr_b32 v[19:20], v3 offset1:126
	ds_load_2addr_b32 v[50:51], v24 offset0:120 offset1:246
	ds_load_2addr_b32 v[52:53], v32 offset0:108 offset1:234
	ds_load_2addr_b32 v[56:57], v30 offset0:116 offset1:242
	ds_load_2addr_b32 v[58:59], v22 offset0:124 offset1:250
	ds_load_2addr_b32 v[60:61], v28 offset0:104 offset1:230
	ds_load_2addr_b32 v[62:63], v26 offset0:112 offset1:238
	ds_load_b32 v37, v3 offset:7056
	v_add_f32_e32 v45, v86, v45
	global_wb scope:SCOPE_SE
	s_wait_dscnt 0x0
	s_barrier_signal -1
	s_barrier_wait -1
	global_inv scope:SCOPE_SE
	ds_store_2addr_b32 v25, v23, v44 offset1:2
	ds_store_b32 v25, v42 offset:16
	ds_store_2addr_b32 v27, v46, v77 offset1:2
	ds_store_b32 v27, v47 offset:16
	;; [unrolled: 2-line block ×5, first 2 shown]
	global_wb scope:SCOPE_SE
	s_wait_dscnt 0x0
	s_barrier_signal -1
	s_barrier_wait -1
	global_inv scope:SCOPE_SE
	global_load_b128 v[11:14], v75, s[4:5] offset:32
	v_mul_lo_u16 v27, v5, 57
	v_mul_u32_u24_e32 v29, 0xe38f, v33
	v_mul_u32_u24_e32 v33, 0xe38f, v35
	v_lshrrev_b32_e32 v66, 18, v66
	v_mul_u32_u24_e32 v35, 0xe38f, v64
	v_lshrrev_b16 v27, 10, v27
	v_lshrrev_b32_e32 v29, 20, v29
	v_lshrrev_b32_e32 v81, 20, v33
	global_load_b128 v[7:10], v74, s[4:5] offset:32
	v_sub_nc_u16 v15, v36, v72
	v_mul_lo_u16 v54, v27, 18
	v_mul_lo_u16 v55, v29, 18
	;; [unrolled: 1-line block ×4, first 2 shown]
	v_and_b32_e32 v33, 0xffff, v67
	v_sub_nc_u16 v54, v38, v54
	v_sub_nc_u16 v55, v40, v55
	v_mul_u32_u24_e32 v67, 0x48, v68
	v_mul_u32_u24_e32 v68, 0x48, v65
	v_sub_nc_u16 v83, v36, v64
	v_and_b32_e32 v85, 0xff, v54
	v_and_b32_e32 v86, 0xffff, v55
	ds_load_2addr_b32 v[54:55], v32 offset0:108 offset1:234
	ds_load_2addr_b32 v[64:65], v30 offset0:116 offset1:242
	v_lshlrev_b32_e32 v17, 4, v73
	v_sub_nc_u16 v23, v34, v16
	v_lshrrev_b32_e32 v82, 20, v35
	v_mul_u32_u24_e32 v66, 0x48, v66
	v_mul_u32_u24_e32 v33, 0x48, v33
	s_wait_loadcnt_dscnt 0x101
	v_mul_f32_e32 v78, v55, v14
	v_dual_mul_f32 v14, v53, v14 :: v_dual_and_b32 v21, 0xffff, v15
	global_load_b128 v[15:18], v17, s[4:5] offset:32
	s_wait_dscnt 0x0
	v_mul_f32_e32 v77, v64, v12
	v_mul_f32_e32 v12, v56, v12
	v_fmac_f32_e32 v14, v55, v13
	s_delay_alu instid0(VALU_DEP_2) | instskip(SKIP_2) | instid1(VALU_DEP_1)
	v_dual_fmac_f32 v12, v64, v11 :: v_dual_lshlrev_b32 v25, 4, v21
	global_load_b128 v[42:45], v25, s[4:5] offset:32
	v_and_b32_e32 v23, 0xffff, v23
	v_lshlrev_b32_e32 v25, 4, v23
	global_load_b128 v[46:49], v25, s[4:5] offset:32
	v_mul_lo_u16 v25, v41, 57
	s_wait_loadcnt 0x3
	v_mul_f32_e32 v76, v54, v10
	v_mul_f32_e32 v10, v52, v10
	v_mul_lo_u16 v74, v82, 18
	v_lshrrev_b16 v25, 10, v25
	s_delay_alu instid0(VALU_DEP_3) | instskip(SKIP_1) | instid1(VALU_DEP_3)
	v_fmac_f32_e32 v10, v54, v9
	v_fma_f32 v54, v56, v11, -v77
	v_mul_lo_u16 v35, v25, 18
	s_delay_alu instid0(VALU_DEP_1) | instskip(NEXT) | instid1(VALU_DEP_1)
	v_sub_nc_u16 v35, v2, v35
	v_and_b32_e32 v84, 0xff, v35
	ds_load_2addr_b32 v[35:36], v24 offset0:120 offset1:246
	s_wait_dscnt 0x0
	v_mul_f32_e32 v75, v36, v8
	v_mul_f32_e32 v8, v51, v8
	s_delay_alu instid0(VALU_DEP_2) | instskip(NEXT) | instid1(VALU_DEP_2)
	v_fma_f32 v51, v51, v7, -v75
	v_fmac_f32_e32 v8, v36, v7
	v_and_b32_e32 v31, 0xffff, v31
	v_fma_f32 v7, v52, v9, -v76
	v_fma_f32 v52, v53, v13, -v78
	v_lshlrev_b32_e32 v69, 2, v70
	v_lshlrev_b32_e32 v70, 2, v71
	v_mul_u32_u24_e32 v31, 0x48, v31
	v_lshlrev_b32_e32 v71, 2, v73
	v_lshlrev_b32_e32 v21, 2, v21
	s_delay_alu instid0(VALU_DEP_4) | instskip(NEXT) | instid1(VALU_DEP_4)
	v_add3_u32 v33, 0, v33, v70
	v_add3_u32 v31, 0, v31, v69
	s_delay_alu instid0(VALU_DEP_4) | instskip(NEXT) | instid1(VALU_DEP_4)
	v_add3_u32 v89, 0, v67, v71
	v_add3_u32 v90, 0, v68, v21
	s_wait_loadcnt 0x2
	v_mul_f32_e32 v79, v65, v16
	v_mul_f32_e32 v16, v57, v16
	s_delay_alu instid0(VALU_DEP_1) | instskip(SKIP_1) | instid1(VALU_DEP_1)
	v_fmac_f32_e32 v16, v65, v15
	v_lshlrev_b32_e32 v23, 2, v23
	v_add3_u32 v23, 0, v66, v23
	ds_load_2addr_b32 v[66:67], v3 offset1:126
	ds_load_2addr_b32 v[68:69], v22 offset0:124 offset1:250
	ds_load_2addr_b32 v[70:71], v28 offset0:104 offset1:230
	;; [unrolled: 1-line block ×3, first 2 shown]
	ds_load_b32 v21, v3 offset:7056
	global_wb scope:SCOPE_SE
	s_wait_loadcnt_dscnt 0x0
	s_barrier_signal -1
	s_barrier_wait -1
	global_inv scope:SCOPE_SE
	v_mul_f32_e32 v53, v71, v45
	v_mul_f32_e32 v13, v73, v47
	;; [unrolled: 1-line block ×3, first 2 shown]
	v_dual_mul_f32 v49, v37, v49 :: v_dual_mul_f32 v36, v72, v43
	s_delay_alu instid0(VALU_DEP_3) | instskip(SKIP_1) | instid1(VALU_DEP_3)
	v_fma_f32 v13, v63, v46, -v13
	v_mul_f32_e32 v47, v63, v47
	v_fmac_f32_e32 v49, v21, v48
	v_fma_f32 v11, v37, v48, -v11
	v_add_f32_e32 v48, v54, v52
	v_mul_f32_e32 v43, v62, v43
	v_fmac_f32_e32 v47, v73, v46
	v_mul_f32_e32 v9, v70, v18
	v_mul_f32_e32 v18, v60, v18
	v_dual_add_f32 v46, v20, v54 :: v_dual_mul_f32 v45, v61, v45
	v_dual_fmac_f32 v20, -0.5, v48 :: v_dual_fmac_f32 v43, v72, v42
	s_delay_alu instid0(VALU_DEP_3)
	v_fmac_f32_e32 v18, v70, v17
	v_sub_f32_e32 v72, v47, v49
	v_fma_f32 v9, v60, v17, -v9
	v_fma_f32 v17, v61, v44, -v53
	v_add_f32_e32 v61, v68, v16
	v_sub_f32_e32 v60, v16, v18
	v_add_f32_e32 v16, v16, v18
	v_fma_f32 v55, v57, v15, -v79
	v_fma_f32 v15, v62, v42, -v36
	v_add_f32_e32 v36, v51, v7
	v_dual_add_f32 v42, v66, v8 :: v_dual_add_f32 v21, v19, v51
	s_delay_alu instid0(VALU_DEP_3)
	v_dual_add_f32 v18, v61, v18 :: v_dual_add_f32 v63, v15, v17
	v_sub_f32_e32 v37, v8, v10
	v_add_f32_e32 v8, v8, v10
	v_add_f32_e32 v62, v59, v15
	v_fma_f32 v19, -0.5, v36, v19
	v_add_f32_e32 v36, v42, v10
	v_dual_add_f32 v10, v46, v52 :: v_dual_fmac_f32 v59, -0.5, v63
	v_add_f32_e32 v53, v67, v12
	v_fmac_f32_e32 v45, v71, v44
	v_add_f32_e32 v71, v13, v11
	v_dual_add_f32 v56, v58, v55 :: v_dual_lshlrev_b32 v87, 4, v84
	v_sub_f32_e32 v44, v51, v7
	v_dual_add_f32 v65, v69, v43 :: v_dual_add_f32 v70, v50, v13
	v_fma_f32 v16, -0.5, v16, v68
	v_dual_fmac_f32 v50, -0.5, v71 :: v_dual_add_f32 v57, v55, v9
	v_sub_f32_e32 v55, v55, v9
	v_sub_f32_e32 v51, v12, v14
	v_add_f32_e32 v12, v12, v14
	v_fma_f32 v8, -0.5, v8, v66
	v_add_f32_e32 v14, v53, v14
	v_add_f32_e32 v42, v65, v45
	v_sub_f32_e32 v64, v43, v45
	v_add_f32_e32 v43, v43, v45
	v_fmac_f32_e32 v67, -0.5, v12
	v_fma_f32 v12, -0.5, v57, v58
	v_sub_f32_e32 v15, v15, v17
	v_add_f32_e32 v7, v21, v7
	v_dual_fmac_f32 v69, -0.5, v43 :: v_dual_sub_f32 v54, v54, v52
	s_delay_alu instid0(VALU_DEP_4)
	v_fmamk_f32 v46, v60, 0x3f5db3d7, v12
	v_fmac_f32_e32 v12, 0xbf5db3d7, v60
	v_fmamk_f32 v21, v37, 0x3f5db3d7, v19
	v_fmac_f32_e32 v19, 0xbf5db3d7, v37
	;; [unrolled: 2-line block ×4, first 2 shown]
	v_add_f32_e32 v73, v35, v47
	v_add_f32_e32 v47, v47, v49
	v_add_f32_e32 v9, v56, v9
	v_sub_f32_e32 v13, v13, v11
	v_add_f32_e32 v17, v62, v17
	v_add_f32_e32 v11, v70, v11
	v_dual_add_f32 v43, v73, v49 :: v_dual_fmamk_f32 v48, v64, 0x3f5db3d7, v59
	v_fmac_f32_e32 v59, 0xbf5db3d7, v64
	v_fmamk_f32 v49, v15, 0xbf5db3d7, v69
	v_fmac_f32_e32 v69, 0x3f5db3d7, v15
	v_fmamk_f32 v15, v72, 0x3f5db3d7, v50
	v_fmac_f32_e32 v50, 0xbf5db3d7, v72
	ds_store_2addr_b32 v31, v7, v21 offset1:6
	ds_store_b32 v31, v19 offset:48
	ds_store_2addr_b32 v33, v10, v44 offset1:6
	ds_store_b32 v33, v20 offset:48
	;; [unrolled: 2-line block ×5, first 2 shown]
	v_sub_nc_u16 v7, v34, v74
	v_fmac_f32_e32 v35, -0.5, v47
	global_wb scope:SCOPE_SE
	s_wait_dscnt 0x0
	s_barrier_signal -1
	s_barrier_wait -1
	global_inv scope:SCOPE_SE
	ds_load_2addr_b32 v[20:21], v3 offset1:126
	ds_load_2addr_b32 v[9:10], v24 offset0:120 offset1:246
	ds_load_2addr_b32 v[57:58], v32 offset0:108 offset1:234
	ds_load_2addr_b32 v[60:61], v30 offset0:116 offset1:242
	ds_load_2addr_b32 v[75:76], v22 offset0:124 offset1:250
	ds_load_2addr_b32 v[77:78], v28 offset0:104 offset1:230
	ds_load_2addr_b32 v[79:80], v26 offset0:112 offset1:238
	ds_load_b32 v91, v3 offset:7056
	v_fmamk_f32 v45, v54, 0xbf5db3d7, v67
	v_fmac_f32_e32 v67, 0x3f5db3d7, v54
	v_and_b32_e32 v34, 0xffff, v7
	v_fmamk_f32 v47, v55, 0xbf5db3d7, v16
	v_fmac_f32_e32 v16, 0x3f5db3d7, v55
	v_fmamk_f32 v51, v13, 0xbf5db3d7, v35
	v_fmac_f32_e32 v35, 0x3f5db3d7, v13
	global_wb scope:SCOPE_SE
	s_wait_dscnt 0x0
	s_barrier_signal -1
	s_barrier_wait -1
	global_inv scope:SCOPE_SE
	ds_store_2addr_b32 v31, v36, v37 offset1:6
	ds_store_b32 v31, v8 offset:48
	ds_store_2addr_b32 v33, v14, v45 offset1:6
	ds_store_b32 v33, v67 offset:48
	;; [unrolled: 2-line block ×5, first 2 shown]
	global_wb scope:SCOPE_SE
	s_wait_dscnt 0x0
	s_barrier_signal -1
	s_barrier_wait -1
	global_inv scope:SCOPE_SE
	global_load_b128 v[12:15], v87, s[4:5] offset:128
	v_and_b32_e32 v11, 0xffff, v83
	v_lshlrev_b32_e32 v8, 4, v86
	v_lshlrev_b32_e32 v88, 4, v85
	;; [unrolled: 1-line block ×5, first 2 shown]
	global_load_b128 v[42:45], v8, s[4:5] offset:128
	v_lshlrev_b32_e32 v8, 4, v34
	s_clause 0x2
	global_load_b128 v[16:19], v88, s[4:5] offset:128
	global_load_b128 v[67:70], v7, s[4:5] offset:128
	;; [unrolled: 1-line block ×3, first 2 shown]
	v_and_b32_e32 v7, 0xffff, v25
	v_and_b32_e32 v8, 0xffff, v27
	v_mul_u32_u24_e32 v25, 0xd8, v29
	v_mul_u32_u24_e32 v27, 0xd8, v81
	;; [unrolled: 1-line block ×5, first 2 shown]
	ds_load_2addr_b32 v[7:8], v24 offset0:120 offset1:246
	ds_load_2addr_b32 v[23:24], v32 offset0:108 offset1:234
	v_add3_u32 v32, 0, v25, v51
	ds_load_2addr_b32 v[63:64], v30 offset0:116 offset1:242
	v_lshlrev_b32_e32 v30, 2, v34
	ds_load_2addr_b32 v[81:82], v28 offset0:104 offset1:230
	v_lshlrev_b32_e32 v50, 2, v85
	v_add3_u32 v35, 0, v35, v37
	v_add_nc_u32_e32 v31, 0x400, v3
	v_add3_u32 v30, 0, v29, v30
	v_add_nc_u32_e32 v33, 0x800, v3
	;; [unrolled: 2-line block ×3, first 2 shown]
	v_add_nc_u32_e32 v47, 0x1000, v3
	v_add_nc_u32_e32 v48, 0x1400, v3
	;; [unrolled: 1-line block ×3, first 2 shown]
	s_wait_loadcnt_dscnt 0x403
	v_mul_f32_e32 v25, v8, v13
	s_wait_dscnt 0x2
	v_dual_mul_f32 v62, v10, v13 :: v_dual_mul_f32 v13, v23, v15
	v_mul_f32_e32 v55, v57, v15
	s_delay_alu instid0(VALU_DEP_3) | instskip(NEXT) | instid1(VALU_DEP_3)
	v_fma_f32 v65, v10, v12, -v25
	v_fmac_f32_e32 v62, v8, v12
	s_delay_alu instid0(VALU_DEP_4) | instskip(NEXT) | instid1(VALU_DEP_4)
	v_fma_f32 v66, v57, v14, -v13
	v_fmac_f32_e32 v55, v23, v14
	s_wait_loadcnt_dscnt 0x201
	v_mul_f32_e32 v15, v63, v17
	v_mul_f32_e32 v59, v60, v17
	v_dual_mul_f32 v17, v24, v19 :: v_dual_add_f32 v12, v65, v66
	v_sub_f32_e32 v13, v62, v55
	v_mul_f32_e32 v54, v58, v19
	v_mul_f32_e32 v19, v64, v43
	v_mul_f32_e32 v56, v61, v43
	v_fma_f32 v12, -0.5, v12, v20
	v_lshlrev_b32_e32 v11, 2, v11
	s_wait_dscnt 0x0
	v_mul_f32_e32 v43, v81, v45
	v_mul_f32_e32 v52, v77, v45
	s_wait_loadcnt 0x1
	v_dual_mul_f32 v50, v79, v68 :: v_dual_mul_f32 v53, v82, v70
	v_add3_u32 v11, 0, v27, v11
	ds_load_2addr_b32 v[83:84], v26 offset0:112 offset1:238
	ds_load_2addr_b32 v[28:29], v3 offset1:126
	ds_load_2addr_b32 v[26:27], v22 offset0:124 offset1:250
	ds_load_b32 v22, v3 offset:7056
	v_mul_f32_e32 v36, v78, v70
	v_fma_f32 v60, v60, v16, -v15
	v_fmac_f32_e32 v59, v63, v16
	v_fma_f32 v63, v58, v18, -v17
	s_wait_loadcnt 0x0
	v_mul_f32_e32 v51, v80, v72
	v_mul_f32_e32 v37, v91, v74
	v_fma_f32 v61, v61, v42, -v19
	v_fmac_f32_e32 v56, v64, v42
	v_fma_f32 v64, v77, v44, -v43
	v_fma_f32 v57, v78, v69, -v53
	v_fmac_f32_e32 v54, v24, v18
	v_dual_add_f32 v15, v60, v63 :: v_dual_fmac_f32 v52, v81, v44
	v_fmac_f32_e32 v36, v82, v69
	v_dual_add_f32 v17, v75, v61 :: v_dual_add_f32 v18, v61, v64
	s_wait_dscnt 0x3
	v_mul_f32_e32 v45, v83, v68
	v_mul_f32_e32 v68, v84, v72
	v_fmac_f32_e32 v50, v83, v67
	s_wait_dscnt 0x0
	v_dual_mul_f32 v70, v22, v74 :: v_dual_fmac_f32 v51, v84, v71
	v_fma_f32 v10, v79, v67, -v45
	v_fma_f32 v53, v80, v71, -v68
	v_fmac_f32_e32 v37, v22, v73
	s_delay_alu instid0(VALU_DEP_4) | instskip(SKIP_3) | instid1(VALU_DEP_4)
	v_fma_f32 v58, v91, v73, -v70
	v_add_f32_e32 v8, v20, v65
	v_dual_add_f32 v23, v10, v57 :: v_dual_add_f32 v22, v76, v10
	v_add_f32_e32 v14, v21, v60
	v_add_f32_e32 v42, v53, v58
	v_dual_sub_f32 v16, v59, v54 :: v_dual_fmac_f32 v21, -0.5, v15
	v_sub_f32_e32 v19, v56, v52
	v_dual_sub_f32 v24, v50, v36 :: v_dual_add_f32 v25, v9, v53
	v_sub_f32_e32 v43, v51, v37
	v_add_f32_e32 v15, v17, v64
	v_fma_f32 v17, -0.5, v18, v75
	v_dual_fmac_f32 v76, -0.5, v23 :: v_dual_fmac_f32 v9, -0.5, v42
	v_add_f32_e32 v8, v8, v66
	v_add_f32_e32 v18, v22, v57
	v_fmamk_f32 v22, v13, 0x3f5db3d7, v12
	v_fmac_f32_e32 v12, 0xbf5db3d7, v13
	v_dual_add_f32 v14, v14, v63 :: v_dual_fmamk_f32 v13, v16, 0x3f5db3d7, v21
	v_dual_fmac_f32 v21, 0xbf5db3d7, v16 :: v_dual_add_f32 v20, v25, v58
	v_fmamk_f32 v16, v19, 0x3f5db3d7, v17
	v_fmac_f32_e32 v17, 0xbf5db3d7, v19
	v_fmamk_f32 v19, v24, 0x3f5db3d7, v76
	v_fmamk_f32 v23, v43, 0x3f5db3d7, v9
	global_wb scope:SCOPE_SE
	s_barrier_signal -1
	s_barrier_wait -1
	global_inv scope:SCOPE_SE
	v_dual_fmac_f32 v76, 0xbf5db3d7, v24 :: v_dual_fmac_f32 v9, 0xbf5db3d7, v43
	ds_store_2addr_b32 v35, v8, v22 offset1:18
	ds_store_b32 v35, v12 offset:144
	ds_store_2addr_b32 v34, v14, v13 offset1:18
	ds_store_b32 v34, v21 offset:144
	;; [unrolled: 2-line block ×5, first 2 shown]
	global_wb scope:SCOPE_SE
	s_wait_dscnt 0x0
	s_barrier_signal -1
	s_barrier_wait -1
	global_inv scope:SCOPE_SE
	ds_load_2addr_b32 v[12:13], v3 offset1:126
	ds_load_2addr_b32 v[24:25], v31 offset0:14 offset1:140
	ds_load_2addr_b32 v[22:23], v33 offset0:28 offset1:154
	;; [unrolled: 1-line block ×6, first 2 shown]
                                        ; implicit-def: $vgpr43
                                        ; implicit-def: $vgpr42
                                        ; implicit-def: $vgpr8
                                        ; implicit-def: $vgpr44
                                        ; implicit-def: $vgpr45
	s_and_saveexec_b32 s1, s0
	s_cbranch_execz .LBB0_19
; %bb.18:
	ds_load_b32 v9, v3 offset:1008
	ds_load_b32 v4, v3 offset:2088
	;; [unrolled: 1-line block ×7, first 2 shown]
.LBB0_19:
	s_wait_alu 0xfffe
	s_or_b32 exec_lo, exec_lo, s1
	v_dual_add_f32 v67, v62, v55 :: v_dual_add_f32 v62, v28, v62
	v_dual_sub_f32 v65, v65, v66 :: v_dual_sub_f32 v60, v60, v63
	v_dual_add_f32 v66, v59, v54 :: v_dual_add_f32 v59, v29, v59
	s_delay_alu instid0(VALU_DEP_3) | instskip(SKIP_2) | instid1(VALU_DEP_4)
	v_fma_f32 v28, -0.5, v67, v28
	v_add_f32_e32 v67, v56, v52
	v_add_f32_e32 v55, v62, v55
	v_dual_fmac_f32 v29, -0.5, v66 :: v_dual_add_f32 v56, v26, v56
	s_delay_alu instid0(VALU_DEP_4) | instskip(SKIP_2) | instid1(VALU_DEP_4)
	v_fmamk_f32 v62, v65, 0xbf5db3d7, v28
	v_dual_add_f32 v54, v59, v54 :: v_dual_sub_f32 v59, v61, v64
	v_fma_f32 v26, -0.5, v67, v26
	v_fmamk_f32 v61, v60, 0xbf5db3d7, v29
	v_fmac_f32_e32 v29, 0x3f5db3d7, v60
	v_add_f32_e32 v52, v56, v52
	v_add_f32_e32 v56, v50, v36
	v_fmamk_f32 v60, v59, 0xbf5db3d7, v26
	v_dual_fmac_f32 v26, 0x3f5db3d7, v59 :: v_dual_add_f32 v59, v51, v37
	s_delay_alu instid0(VALU_DEP_3) | instskip(SKIP_1) | instid1(VALU_DEP_3)
	v_dual_add_f32 v50, v27, v50 :: v_dual_fmac_f32 v27, -0.5, v56
	v_dual_sub_f32 v10, v10, v57 :: v_dual_add_f32 v51, v7, v51
	v_fmac_f32_e32 v7, -0.5, v59
	s_delay_alu instid0(VALU_DEP_3) | instskip(SKIP_1) | instid1(VALU_DEP_4)
	v_dual_sub_f32 v53, v53, v58 :: v_dual_add_f32 v36, v50, v36
	v_fmac_f32_e32 v28, 0x3f5db3d7, v65
	v_fmamk_f32 v50, v10, 0xbf5db3d7, v27
	v_dual_fmac_f32 v27, 0x3f5db3d7, v10 :: v_dual_add_f32 v10, v51, v37
	s_delay_alu instid0(VALU_DEP_4)
	v_fmamk_f32 v37, v53, 0xbf5db3d7, v7
	v_fmac_f32_e32 v7, 0x3f5db3d7, v53
	global_wb scope:SCOPE_SE
	s_wait_dscnt 0x0
	s_barrier_signal -1
	s_barrier_wait -1
	global_inv scope:SCOPE_SE
	ds_store_2addr_b32 v35, v55, v62 offset1:18
	ds_store_b32 v35, v28 offset:144
	ds_store_2addr_b32 v34, v54, v61 offset1:18
	ds_store_b32 v34, v29 offset:144
	;; [unrolled: 2-line block ×5, first 2 shown]
	global_wb scope:SCOPE_SE
	s_wait_dscnt 0x0
	s_barrier_signal -1
	s_barrier_wait -1
	global_inv scope:SCOPE_SE
	ds_load_2addr_b32 v[10:11], v3 offset1:126
	ds_load_2addr_b32 v[36:37], v31 offset0:14 offset1:140
	ds_load_2addr_b32 v[34:35], v33 offset0:28 offset1:154
	;; [unrolled: 1-line block ×6, first 2 shown]
                                        ; implicit-def: $vgpr52
                                        ; implicit-def: $vgpr51
                                        ; implicit-def: $vgpr50
                                        ; implicit-def: $vgpr53
                                        ; implicit-def: $vgpr54
	s_and_saveexec_b32 s1, s0
	s_cbranch_execz .LBB0_21
; %bb.20:
	ds_load_b32 v7, v3 offset:1008
	ds_load_b32 v6, v3 offset:2088
	;; [unrolled: 1-line block ×7, first 2 shown]
.LBB0_21:
	s_wait_alu 0xfffe
	s_or_b32 exec_lo, exec_lo, s1
	v_mul_lo_u16 v41, v41, 19
	v_mul_lo_u16 v5, v5, 19
	v_lshrrev_b16 v49, 1, v40
	s_delay_alu instid0(VALU_DEP_3) | instskip(NEXT) | instid1(VALU_DEP_3)
	v_lshrrev_b16 v41, 10, v41
	v_lshrrev_b16 v5, 10, v5
	s_delay_alu instid0(VALU_DEP_2) | instskip(NEXT) | instid1(VALU_DEP_2)
	v_mul_lo_u16 v46, v41, 54
	v_mul_lo_u16 v48, v5, 54
	s_delay_alu instid0(VALU_DEP_2) | instskip(NEXT) | instid1(VALU_DEP_2)
	v_sub_nc_u16 v46, v2, v46
	v_sub_nc_u16 v48, v38, v48
	s_delay_alu instid0(VALU_DEP_2) | instskip(NEXT) | instid1(VALU_DEP_1)
	v_and_b32_e32 v46, 0xff, v46
	v_mul_u32_u24_e32 v47, 6, v46
	s_delay_alu instid0(VALU_DEP_1)
	v_lshlrev_b32_e32 v47, 3, v47
	s_clause 0x1
	global_load_b128 v[58:61], v47, s[4:5] offset:416
	global_load_b128 v[62:65], v47, s[4:5] offset:432
	v_and_b32_e32 v49, 0xffff, v49
	v_and_b32_e32 v48, 0xff, v48
	;; [unrolled: 1-line block ×3, first 2 shown]
	v_lshlrev_b32_e32 v46, 2, v46
	s_delay_alu instid0(VALU_DEP_2)
	v_mul_u32_u24_e32 v41, 0x5e8, v41
	s_wait_loadcnt 0x1
	v_mul_f32_e32 v56, v24, v59
	v_mul_u32_u24_e32 v49, 0x97b5, v49
	v_mul_f32_e32 v57, v22, v61
	v_mul_u32_u24_e32 v55, 6, v48
	s_wait_loadcnt_dscnt 0x3
	v_dual_mul_f32 v94, v34, v61 :: v_dual_mul_f32 v61, v32, v63
	v_lshrrev_b32_e32 v49, 20, v49
	global_load_b128 v[66:69], v47, s[4:5] offset:448
	v_dual_fmac_f32 v56, v36, v58 :: v_dual_lshlrev_b32 v47, 3, v55
	v_lshlrev_b32_e32 v48, 2, v48
	v_mul_lo_u16 v49, v49, 54
	v_fma_f32 v61, v20, v62, -v61
	s_clause 0x2
	global_load_b128 v[70:73], v47, s[4:5] offset:416
	global_load_b128 v[74:77], v47, s[4:5] offset:432
	;; [unrolled: 1-line block ×3, first 2 shown]
	v_and_b32_e32 v5, 0xffff, v5
	v_sub_nc_u16 v49, v40, v49
	v_fmac_f32_e32 v57, v34, v60
	s_wait_dscnt 0x2
	v_mul_f32_e32 v95, v30, v65
	v_mul_u32_u24_e32 v5, 0x5e8, v5
	v_and_b32_e32 v55, 0xffff, v49
	s_delay_alu instid0(VALU_DEP_1) | instskip(NEXT) | instid1(VALU_DEP_1)
	v_mul_u32_u24_e32 v47, 6, v55
	v_lshlrev_b32_e32 v47, 3, v47
	s_clause 0x2
	global_load_b128 v[82:85], v47, s[4:5] offset:416
	global_load_b128 v[86:89], v47, s[4:5] offset:432
	;; [unrolled: 1-line block ×3, first 2 shown]
	v_add3_u32 v47, 0, v41, v46
	v_add3_u32 v46, 0, v5, v48
	v_mul_f32_e32 v5, v36, v59
	global_wb scope:SCOPE_SE
	s_wait_loadcnt_dscnt 0x0
	s_barrier_signal -1
	v_add_nc_u32_e32 v49, 0x200, v47
	v_add_nc_u32_e32 v48, 0x200, v46
	v_fma_f32 v59, v24, v58, -v5
	v_fma_f32 v58, v22, v60, -v94
	v_mul_f32_e32 v60, v18, v65
	s_barrier_wait -1
	global_inv scope:SCOPE_SE
	v_fmac_f32_e32 v60, v30, v64
	v_mul_f32_e32 v22, v28, v67
	v_lshl_add_u32 v41, v55, 2, 0
	v_mul_f32_e32 v55, v20, v63
	v_dual_mul_f32 v63, v16, v67 :: v_dual_mul_f32 v24, v26, v69
	v_mul_f32_e32 v65, v14, v69
	v_mul_f32_e32 v5, v25, v71
	s_delay_alu instid0(VALU_DEP_4)
	v_fmac_f32_e32 v55, v32, v62
	v_fma_f32 v62, v18, v64, -v95
	v_mul_f32_e32 v18, v37, v71
	v_mul_f32_e32 v20, v35, v73
	v_fma_f32 v64, v16, v66, -v22
	v_mul_f32_e32 v22, v33, v75
	v_dual_mul_f32 v16, v23, v73 :: v_dual_fmac_f32 v63, v28, v66
	v_fma_f32 v66, v14, v68, -v24
	v_dual_mul_f32 v14, v21, v75 :: v_dual_fmac_f32 v65, v26, v68
	v_mul_f32_e32 v36, v17, v79
	v_fma_f32 v32, v25, v70, -v18
	v_dual_mul_f32 v25, v29, v79 :: v_dual_mul_f32 v26, v27, v81
	v_mul_f32_e32 v24, v31, v77
	v_dual_mul_f32 v18, v19, v77 :: v_dual_fmac_f32 v5, v37, v70
	v_fmac_f32_e32 v16, v35, v72
	v_fma_f32 v34, v23, v72, -v20
	v_dual_mul_f32 v37, v15, v81 :: v_dual_fmac_f32 v14, v33, v74
	v_fma_f32 v17, v17, v78, -v25
	v_fma_f32 v15, v15, v80, -v26
	;; [unrolled: 1-line block ×4, first 2 shown]
	v_dual_fmac_f32 v18, v31, v76 :: v_dual_mul_f32 v21, v4, v83
	v_dual_fmac_f32 v36, v29, v78 :: v_dual_fmac_f32 v37, v27, v80
	v_dual_mul_f32 v26, v6, v83 :: v_dual_mul_f32 v25, v8, v93
	v_dual_mul_f32 v20, v45, v87 :: v_dual_mul_f32 v23, v42, v89
	v_dual_mul_f32 v24, v44, v91 :: v_dual_mul_f32 v33, v50, v93
	v_dual_sub_f32 v70, v57, v63 :: v_dual_add_f32 v75, v34, v17
	v_dual_add_f32 v73, v32, v15 :: v_dual_sub_f32 v74, v5, v37
	v_dual_mul_f32 v28, v52, v85 :: v_dual_mul_f32 v29, v54, v87
	v_dual_mul_f32 v22, v43, v85 :: v_dual_mul_f32 v31, v53, v91
	v_dual_mul_f32 v30, v51, v89 :: v_dual_add_f32 v69, v58, v64
	v_dual_add_f32 v67, v59, v66 :: v_dual_sub_f32 v68, v56, v65
	v_dual_add_f32 v71, v61, v62 :: v_dual_sub_f32 v72, v60, v55
	v_dual_sub_f32 v76, v16, v36 :: v_dual_add_f32 v77, v35, v19
	v_dual_sub_f32 v78, v18, v14 :: v_dual_fmac_f32 v23, v51, v88
	v_dual_fmac_f32 v24, v53, v90 :: v_dual_fmac_f32 v25, v50, v92
	v_add_f32_e32 v50, v75, v73
	v_fma_f32 v27, v4, v82, -v26
	v_dual_fmac_f32 v21, v6, v82 :: v_dual_fmac_f32 v22, v52, v84
	v_fma_f32 v26, v43, v84, -v28
	v_fma_f32 v28, v45, v86, -v29
	v_fmac_f32_e32 v20, v54, v86
	v_fma_f32 v29, v42, v88, -v30
	v_fma_f32 v30, v44, v90, -v31
	v_fma_f32 v31, v8, v92, -v33
	v_dual_sub_f32 v33, v71, v69 :: v_dual_add_f32 v4, v69, v67
	v_dual_sub_f32 v43, v72, v70 :: v_dual_sub_f32 v6, v69, v67
	v_dual_sub_f32 v45, v70, v68 :: v_dual_sub_f32 v8, v67, v71
	v_dual_sub_f32 v67, v78, v76 :: v_dual_add_f32 v42, v72, v70
	v_sub_f32_e32 v51, v75, v73
	s_delay_alu instid0(VALU_DEP_4)
	v_dual_sub_f32 v52, v73, v77 :: v_dual_mul_f32 v43, 0xbf08b237, v43
	v_sub_f32_e32 v69, v74, v78
	v_add_f32_e32 v50, v77, v50
	v_dual_sub_f32 v44, v68, v72 :: v_dual_sub_f32 v53, v77, v75
	v_dual_sub_f32 v70, v76, v74 :: v_dual_mul_f32 v67, 0xbf08b237, v67
	v_add_f32_e32 v4, v71, v4
	s_delay_alu instid0(VALU_DEP_4)
	v_dual_mul_f32 v8, 0x3f4a47b2, v8 :: v_dual_add_f32 v13, v13, v50
	v_add_f32_e32 v42, v42, v68
	v_mul_f32_e32 v52, 0x3f4a47b2, v52
	v_mul_f32_e32 v68, 0x3d64c772, v33
	v_dual_add_f32 v54, v78, v76 :: v_dual_mul_f32 v71, 0x3f5ff5aa, v45
	v_mul_f32_e32 v73, 0x3f5ff5aa, v70
	v_fmamk_f32 v33, v33, 0x3d64c772, v8
	s_delay_alu instid0(VALU_DEP_4)
	v_fma_f32 v68, 0x3f3bfb3b, v6, -v68
	v_fma_f32 v6, 0xbf3bfb3b, v6, -v8
	v_fmamk_f32 v8, v44, 0x3eae86e6, v43
	v_fma_f32 v43, 0x3f5ff5aa, v45, -v43
	v_add_f32_e32 v12, v12, v4
	v_fma_f32 v44, 0xbeae86e6, v44, -v71
	v_fmamk_f32 v45, v53, 0x3d64c772, v52
	v_fmac_f32_e32 v8, 0x3ee1c552, v42
	v_fmac_f32_e32 v43, 0x3ee1c552, v42
	v_fmamk_f32 v4, v4, 0xbf955555, v12
	v_add_f32_e32 v54, v54, v74
	v_fmac_f32_e32 v44, 0x3ee1c552, v42
	s_delay_alu instid0(VALU_DEP_3) | instskip(SKIP_3) | instid1(VALU_DEP_4)
	v_dual_fmamk_f32 v42, v50, 0xbf955555, v13 :: v_dual_add_f32 v33, v33, v4
	v_add_f32_e32 v50, v68, v4
	v_add_f32_e32 v4, v6, v4
	v_mul_f32_e32 v72, 0x3d64c772, v53
	v_add_f32_e32 v6, v45, v42
	s_delay_alu instid0(VALU_DEP_2) | instskip(NEXT) | instid1(VALU_DEP_1)
	v_fma_f32 v53, 0x3f3bfb3b, v51, -v72
	v_add_f32_e32 v45, v53, v42
	v_add_f32_e32 v53, v44, v4
	v_fma_f32 v51, 0xbf3bfb3b, v51, -v52
	v_fmamk_f32 v52, v69, 0x3eae86e6, v67
	v_fma_f32 v67, 0x3f5ff5aa, v70, -v67
	v_fma_f32 v69, 0xbeae86e6, v69, -v73
	v_sub_f32_e32 v4, v4, v44
	v_add_f32_e32 v42, v51, v42
	v_fmac_f32_e32 v52, 0x3ee1c552, v54
	v_fmac_f32_e32 v67, 0x3ee1c552, v54
	;; [unrolled: 1-line block ×3, first 2 shown]
	v_dual_add_f32 v51, v8, v33 :: v_dual_sub_f32 v54, v50, v43
	v_dual_add_f32 v43, v43, v50 :: v_dual_sub_f32 v8, v33, v8
	v_add_f32_e32 v33, v52, v6
	s_delay_alu instid0(VALU_DEP_4)
	v_add_f32_e32 v44, v69, v42
	v_dual_sub_f32 v50, v45, v67 :: v_dual_add_f32 v45, v67, v45
	v_sub_f32_e32 v42, v42, v69
	v_sub_f32_e32 v6, v6, v52
	ds_store_2addr_b32 v47, v12, v51 offset1:54
	ds_store_2addr_b32 v47, v53, v54 offset0:108 offset1:162
	ds_store_2addr_b32 v49, v43, v4 offset0:88 offset1:142
	ds_store_b32 v47, v8 offset:1296
	ds_store_2addr_b32 v46, v13, v33 offset1:54
	ds_store_2addr_b32 v46, v44, v50 offset0:108 offset1:162
	ds_store_2addr_b32 v48, v45, v42 offset0:88 offset1:142
	ds_store_b32 v46, v6 offset:1296
	s_and_saveexec_b32 s1, s0
	s_cbranch_execz .LBB0_23
; %bb.22:
	v_dual_add_f32 v4, v27, v31 :: v_dual_sub_f32 v43, v21, v25
	v_sub_f32_e32 v42, v22, v24
	s_delay_alu instid0(VALU_DEP_1) | instskip(NEXT) | instid1(VALU_DEP_1)
	v_dual_add_f32 v6, v28, v29 :: v_dual_sub_f32 v45, v42, v43
	v_dual_sub_f32 v12, v23, v20 :: v_dual_sub_f32 v13, v4, v6
	s_delay_alu instid0(VALU_DEP_1) | instskip(NEXT) | instid1(VALU_DEP_2)
	v_dual_add_f32 v8, v26, v30 :: v_dual_sub_f32 v51, v43, v12
	v_mul_f32_e32 v13, 0x3f4a47b2, v13
	s_delay_alu instid0(VALU_DEP_2) | instskip(SKIP_3) | instid1(VALU_DEP_4)
	v_add_f32_e32 v33, v8, v4
	v_sub_f32_e32 v44, v6, v8
	v_sub_f32_e32 v4, v8, v4
	v_mul_f32_e32 v8, 0x3f5ff5aa, v45
	v_add_f32_e32 v6, v6, v33
	s_delay_alu instid0(VALU_DEP_2) | instskip(NEXT) | instid1(VALU_DEP_2)
	v_fma_f32 v8, 0xbeae86e6, v51, -v8
	v_add_f32_e32 v9, v9, v6
	v_sub_f32_e32 v33, v12, v42
	s_delay_alu instid0(VALU_DEP_1) | instskip(NEXT) | instid1(VALU_DEP_1)
	v_dual_add_f32 v12, v12, v42 :: v_dual_mul_f32 v33, 0xbf08b237, v33
	v_add_f32_e32 v12, v12, v43
	s_delay_alu instid0(VALU_DEP_2) | instskip(SKIP_2) | instid1(VALU_DEP_4)
	v_fma_f32 v42, 0x3f5ff5aa, v45, -v33
	v_add_nc_u32_e32 v45, 0x1800, v41
	v_fmamk_f32 v33, v51, 0x3eae86e6, v33
	v_fmac_f32_e32 v8, 0x3ee1c552, v12
	s_delay_alu instid0(VALU_DEP_4)
	v_fmac_f32_e32 v42, 0x3ee1c552, v12
	v_fmamk_f32 v6, v6, 0xbf955555, v9
	v_mul_f32_e32 v50, 0x3d64c772, v44
	v_fmac_f32_e32 v33, 0x3ee1c552, v12
	v_fmamk_f32 v44, v44, 0x3d64c772, v13
	v_fma_f32 v13, 0xbf3bfb3b, v4, -v13
	s_delay_alu instid0(VALU_DEP_1) | instskip(SKIP_1) | instid1(VALU_DEP_2)
	v_add_f32_e32 v13, v13, v6
	v_fma_f32 v4, 0x3f3bfb3b, v4, -v50
	v_sub_f32_e32 v12, v13, v8
	s_delay_alu instid0(VALU_DEP_2) | instskip(SKIP_1) | instid1(VALU_DEP_2)
	v_add_f32_e32 v4, v4, v6
	v_add_f32_e32 v8, v8, v13
	v_sub_f32_e32 v43, v4, v42
	v_add_f32_e32 v6, v44, v6
	v_add_nc_u32_e32 v44, 0x1600, v41
	s_delay_alu instid0(VALU_DEP_2)
	v_dual_add_f32 v4, v42, v4 :: v_dual_add_f32 v13, v33, v6
	v_sub_f32_e32 v6, v6, v33
	ds_store_2addr_b32 v44, v9, v13 offset0:104 offset1:158
	ds_store_2addr_b32 v45, v8, v43 offset0:84 offset1:138
	;; [unrolled: 1-line block ×3, first 2 shown]
	ds_store_b32 v41, v6 offset:7344
.LBB0_23:
	s_wait_alu 0xfffe
	s_or_b32 exec_lo, exec_lo, s1
	v_dual_add_f32 v4, v56, v65 :: v_dual_add_f32 v9, v55, v60
	v_dual_add_f32 v6, v57, v63 :: v_dual_sub_f32 v13, v62, v61
	v_sub_f32_e32 v8, v59, v66
	global_wb scope:SCOPE_SE
	s_wait_dscnt 0x0
	s_barrier_signal -1
	v_add_f32_e32 v33, v6, v4
	v_sub_f32_e32 v12, v58, v64
	v_sub_f32_e32 v42, v6, v4
	;; [unrolled: 1-line block ×4, first 2 shown]
	v_add_f32_e32 v9, v9, v33
	v_add_f32_e32 v43, v13, v12
	v_sub_f32_e32 v33, v13, v12
	v_sub_f32_e32 v13, v8, v13
	;; [unrolled: 1-line block ×3, first 2 shown]
	s_barrier_wait -1
	v_dual_add_f32 v8, v43, v8 :: v_dual_add_f32 v43, v10, v9
	v_mul_f32_e32 v10, 0x3d64c772, v6
	v_mul_f32_e32 v33, 0xbf08b237, v33
	global_inv scope:SCOPE_SE
	v_fmamk_f32 v9, v9, 0xbf955555, v43
	v_mul_f32_e32 v4, 0x3f4a47b2, v4
	v_fma_f32 v10, 0x3f3bfb3b, v42, -v10
	s_delay_alu instid0(VALU_DEP_2) | instskip(SKIP_1) | instid1(VALU_DEP_1)
	v_fmamk_f32 v6, v6, 0x3d64c772, v4
	v_fma_f32 v4, 0xbf3bfb3b, v42, -v4
	v_add_f32_e32 v4, v4, v9
	v_mul_f32_e32 v44, 0x3f5ff5aa, v12
	v_fma_f32 v12, 0x3f5ff5aa, v12, -v33
	s_delay_alu instid0(VALU_DEP_1) | instskip(SKIP_1) | instid1(VALU_DEP_4)
	v_fmac_f32_e32 v12, 0x3ee1c552, v8
	v_fmamk_f32 v42, v13, 0x3eae86e6, v33
	v_fma_f32 v13, 0xbeae86e6, v13, -v44
	s_delay_alu instid0(VALU_DEP_1) | instskip(NEXT) | instid1(VALU_DEP_1)
	v_fmac_f32_e32 v13, 0x3ee1c552, v8
	v_dual_sub_f32 v45, v4, v13 :: v_dual_add_f32 v52, v13, v4
	v_dual_add_f32 v4, v5, v37 :: v_dual_add_f32 v5, v16, v36
	v_add_f32_e32 v33, v6, v9
	v_add_f32_e32 v6, v10, v9
	v_dual_sub_f32 v9, v34, v17 :: v_dual_add_nc_u32 v16, 0x600, v3
	s_delay_alu instid0(VALU_DEP_2)
	v_dual_sub_f32 v13, v5, v4 :: v_dual_add_f32 v50, v12, v6
	v_sub_f32_e32 v51, v6, v12
	v_fmac_f32_e32 v42, 0x3ee1c552, v8
	v_add_f32_e32 v8, v14, v18
	v_add_f32_e32 v12, v5, v4
	v_sub_f32_e32 v6, v32, v15
	v_add_nc_u32_e32 v18, 0x1200, v3
	s_delay_alu instid0(VALU_DEP_4) | instskip(SKIP_2) | instid1(VALU_DEP_3)
	v_sub_f32_e32 v4, v4, v8
	v_dual_sub_f32 v5, v8, v5 :: v_dual_sub_f32 v44, v33, v42
	v_dual_add_f32 v33, v42, v33 :: v_dual_add_f32 v8, v8, v12
	v_mul_f32_e32 v4, 0x3f4a47b2, v4
	s_delay_alu instid0(VALU_DEP_2) | instskip(NEXT) | instid1(VALU_DEP_2)
	v_dual_add_f32 v32, v11, v8 :: v_dual_mul_f32 v11, 0x3d64c772, v5
	v_fmamk_f32 v5, v5, 0x3d64c772, v4
	v_fma_f32 v4, 0xbf3bfb3b, v13, -v4
	s_delay_alu instid0(VALU_DEP_3) | instskip(NEXT) | instid1(VALU_DEP_4)
	v_fmamk_f32 v8, v8, 0xbf955555, v32
	v_fma_f32 v11, 0x3f3bfb3b, v13, -v11
	s_delay_alu instid0(VALU_DEP_2) | instskip(NEXT) | instid1(VALU_DEP_4)
	v_dual_add_f32 v37, v5, v8 :: v_dual_sub_f32 v10, v19, v35
	v_add_f32_e32 v54, v4, v8
	s_delay_alu instid0(VALU_DEP_3) | instskip(NEXT) | instid1(VALU_DEP_3)
	v_add_f32_e32 v53, v11, v8
	v_dual_add_f32 v14, v10, v9 :: v_dual_add_nc_u32 v11, 0x1600, v3
	v_dual_sub_f32 v12, v10, v9 :: v_dual_sub_f32 v9, v9, v6
	v_sub_f32_e32 v10, v6, v10
	s_delay_alu instid0(VALU_DEP_3) | instskip(NEXT) | instid1(VALU_DEP_3)
	v_add_f32_e32 v6, v14, v6
	v_mul_f32_e32 v12, 0xbf08b237, v12
	s_delay_alu instid0(VALU_DEP_4) | instskip(NEXT) | instid1(VALU_DEP_2)
	v_mul_f32_e32 v14, 0x3f5ff5aa, v9
	v_fmamk_f32 v34, v10, 0x3eae86e6, v12
	v_fma_f32 v35, 0x3f5ff5aa, v9, -v12
	s_delay_alu instid0(VALU_DEP_3) | instskip(SKIP_1) | instid1(VALU_DEP_4)
	v_fma_f32 v36, 0xbeae86e6, v10, -v14
	v_add_nc_u32_e32 v10, 0xe00, v3
	v_fmac_f32_e32 v34, 0x3ee1c552, v6
	s_delay_alu instid0(VALU_DEP_4) | instskip(NEXT) | instid1(VALU_DEP_4)
	v_fmac_f32_e32 v35, 0x3ee1c552, v6
	v_fmac_f32_e32 v36, 0x3ee1c552, v6
	v_add_nc_u32_e32 v6, 0x200, v3
	ds_load_2addr_b32 v[4:5], v3 offset1:126
	ds_load_2addr_b32 v[8:9], v6 offset0:124 offset1:250
	v_dual_sub_f32 v55, v54, v36 :: v_dual_add_nc_u32 v6, 0xa00, v3
	ds_load_2addr_b32 v[12:13], v6 offset0:116 offset1:242
	ds_load_2addr_b32 v[14:15], v10 offset0:112 offset1:238
	;; [unrolled: 1-line block ×5, first 2 shown]
	ds_load_b32 v6, v3 offset:7056
	v_sub_f32_e32 v42, v37, v34
	v_dual_add_f32 v56, v35, v53 :: v_dual_sub_f32 v35, v53, v35
	v_add_f32_e32 v36, v36, v54
	v_add_f32_e32 v34, v34, v37
	global_wb scope:SCOPE_SE
	s_wait_dscnt 0x0
	s_barrier_signal -1
	s_barrier_wait -1
	global_inv scope:SCOPE_SE
	ds_store_2addr_b32 v47, v43, v44 offset1:54
	ds_store_2addr_b32 v47, v45, v50 offset0:108 offset1:162
	ds_store_2addr_b32 v49, v51, v52 offset0:88 offset1:142
	ds_store_b32 v47, v33 offset:1296
	ds_store_2addr_b32 v46, v32, v42 offset1:54
	ds_store_2addr_b32 v46, v55, v56 offset0:108 offset1:162
	ds_store_2addr_b32 v48, v35, v36 offset0:88 offset1:142
	ds_store_b32 v46, v34 offset:1296
	s_and_saveexec_b32 s1, s0
	s_cbranch_execz .LBB0_25
; %bb.24:
	v_dual_add_f32 v21, v21, v25 :: v_dual_add_f32 v22, v22, v24
	v_sub_f32_e32 v24, v27, v31
	v_dual_add_f32 v20, v20, v23 :: v_dual_sub_f32 v25, v29, v28
	v_sub_f32_e32 v23, v26, v30
	s_delay_alu instid0(VALU_DEP_4) | instskip(NEXT) | instid1(VALU_DEP_3)
	v_add_f32_e32 v26, v22, v21
	v_dual_sub_f32 v27, v22, v21 :: v_dual_sub_f32 v22, v20, v22
	v_sub_f32_e32 v21, v21, v20
	s_delay_alu instid0(VALU_DEP_4) | instskip(NEXT) | instid1(VALU_DEP_4)
	v_add_f32_e32 v28, v25, v23
	v_add_f32_e32 v20, v20, v26
	v_dual_sub_f32 v26, v25, v23 :: v_dual_sub_f32 v25, v24, v25
	v_sub_f32_e32 v23, v23, v24
	s_delay_alu instid0(VALU_DEP_4) | instskip(NEXT) | instid1(VALU_DEP_4)
	v_dual_add_f32 v24, v28, v24 :: v_dual_mul_f32 v21, 0x3f4a47b2, v21
	v_dual_add_f32 v7, v7, v20 :: v_dual_mul_f32 v28, 0x3d64c772, v22
	s_delay_alu instid0(VALU_DEP_4) | instskip(NEXT) | instid1(VALU_DEP_3)
	v_mul_f32_e32 v26, 0xbf08b237, v26
	v_fmamk_f32 v22, v22, 0x3d64c772, v21
	s_delay_alu instid0(VALU_DEP_3) | instskip(SKIP_4) | instid1(VALU_DEP_3)
	v_fmamk_f32 v20, v20, 0xbf955555, v7
	v_mul_f32_e32 v29, 0x3f5ff5aa, v23
	v_fma_f32 v28, 0x3f3bfb3b, v27, -v28
	v_fma_f32 v23, 0x3f5ff5aa, v23, -v26
	;; [unrolled: 1-line block ×3, first 2 shown]
	v_dual_fmamk_f32 v27, v25, 0x3eae86e6, v26 :: v_dual_add_f32 v26, v28, v20
	s_delay_alu instid0(VALU_DEP_3) | instskip(NEXT) | instid1(VALU_DEP_1)
	v_fmac_f32_e32 v23, 0x3ee1c552, v24
	v_dual_add_f32 v28, v23, v26 :: v_dual_sub_f32 v23, v26, v23
	v_add_f32_e32 v22, v22, v20
	v_fma_f32 v25, 0xbeae86e6, v25, -v29
	v_dual_add_f32 v20, v21, v20 :: v_dual_add_nc_u32 v29, 0x1800, v41
	v_add_nc_u32_e32 v26, 0x1600, v41
	s_delay_alu instid0(VALU_DEP_3) | instskip(NEXT) | instid1(VALU_DEP_1)
	v_fmac_f32_e32 v25, 0x3ee1c552, v24
	v_dual_fmac_f32 v27, 0x3ee1c552, v24 :: v_dual_sub_f32 v24, v20, v25
	s_delay_alu instid0(VALU_DEP_1)
	v_dual_sub_f32 v21, v22, v27 :: v_dual_add_f32 v22, v27, v22
	v_add_f32_e32 v20, v25, v20
	ds_store_2addr_b32 v26, v7, v21 offset0:104 offset1:158
	ds_store_2addr_b32 v29, v24, v28 offset0:84 offset1:138
	;; [unrolled: 1-line block ×3, first 2 shown]
	ds_store_b32 v41, v22 offset:7344
.LBB0_25:
	s_wait_alu 0xfffe
	s_or_b32 exec_lo, exec_lo, s1
	global_wb scope:SCOPE_SE
	s_wait_dscnt 0x0
	s_barrier_signal -1
	s_barrier_wait -1
	global_inv scope:SCOPE_SE
	s_and_saveexec_b32 s0, vcc_lo
	s_cbranch_execz .LBB0_27
; %bb.26:
	v_dual_mov_b32 v37, 0 :: v_dual_lshlrev_b32 v36, 2, v40
	v_mul_hi_u32 v48, 0xad602b59, v39
	s_delay_alu instid0(VALU_DEP_2) | instskip(SKIP_1) | instid1(VALU_DEP_3)
	v_lshlrev_b64_e32 v[20:21], 3, v[36:37]
	v_lshlrev_b32_e32 v36, 2, v38
	v_lshrrev_b32_e32 v57, 7, v48
	s_delay_alu instid0(VALU_DEP_3) | instskip(SKIP_1) | instid1(VALU_DEP_4)
	v_add_co_u32 v24, vcc_lo, s4, v20
	s_wait_alu 0xfffd
	v_add_co_ci_u32_e32 v25, vcc_lo, s5, v21, vcc_lo
	v_lshlrev_b64_e32 v[28:29], 3, v[36:37]
	s_clause 0x1
	global_load_b128 v[20:23], v[24:25], off offset:3008
	global_load_b128 v[24:27], v[24:25], off offset:3024
	v_lshlrev_b32_e32 v36, 2, v2
	v_add_nc_u32_e32 v52, 0x1200, v3
	v_add_co_u32 v32, vcc_lo, s4, v28
	s_wait_alu 0xfffd
	v_add_co_ci_u32_e32 v33, vcc_lo, s5, v29, vcc_lo
	v_lshlrev_b64_e32 v[40:41], 3, v[36:37]
	s_clause 0x1
	global_load_b128 v[28:31], v[32:33], off offset:3008
	global_load_b128 v[32:35], v[32:33], off offset:3024
	v_add_nc_u32_e32 v36, 0xe00, v3
	v_add_co_u32 v44, vcc_lo, s4, v40
	s_wait_alu 0xfffd
	v_add_co_ci_u32_e32 v45, vcc_lo, s5, v41, vcc_lo
	s_clause 0x1
	global_load_b128 v[40:43], v[44:45], off offset:3008
	global_load_b128 v[44:47], v[44:45], off offset:3024
	ds_load_b32 v58, v3 offset:7056
	v_add_nc_u32_e32 v7, 0x600, v3
	ds_load_2addr_b32 v[38:39], v3 offset1:126
	s_wait_loadcnt_dscnt 0x401
	v_mul_f32_e32 v60, v26, v58
	ds_load_2addr_b32 v[48:49], v7 offset0:120 offset1:246
	ds_load_2addr_b32 v[50:51], v36 offset0:112 offset1:238
	;; [unrolled: 1-line block ×3, first 2 shown]
	v_add_nc_u32_e32 v54, 0x200, v3
	v_add_nc_u32_e32 v55, 0xa00, v3
	v_dual_mov_b32 v3, v37 :: v_dual_add_nc_u32 v56, 0x1600, v3
	v_add_co_u32 v7, vcc_lo, s8, v0
	v_mul_u32_u24_e32 v36, 0x5e8, v57
	s_wait_alu 0xfffd
	v_add_co_ci_u32_e32 v57, vcc_lo, s9, v1, vcc_lo
	v_lshlrev_b64_e32 v[2:3], 3, v[2:3]
	s_delay_alu instid0(VALU_DEP_3) | instskip(NEXT) | instid1(VALU_DEP_2)
	v_lshlrev_b64_e32 v[36:37], 3, v[36:37]
	v_add_co_u32 v2, vcc_lo, v7, v2
	s_wait_alu 0xfffd
	s_delay_alu instid0(VALU_DEP_3)
	v_add_co_ci_u32_e32 v3, vcc_lo, v57, v3, vcc_lo
	s_wait_dscnt 0x2
	v_mul_f32_e32 v7, v20, v49
	v_mul_f32_e32 v49, v21, v49
	s_wait_dscnt 0x1
	v_mul_f32_e32 v59, v22, v50
	s_wait_dscnt 0x0
	v_dual_mul_f32 v61, v24, v53 :: v_dual_mul_f32 v50, v23, v50
	v_mul_f32_e32 v53, v25, v53
	ds_load_2addr_b32 v[0:1], v54 offset0:124 offset1:250
	ds_load_2addr_b32 v[54:55], v55 offset0:116 offset1:242
	;; [unrolled: 1-line block ×3, first 2 shown]
	v_dual_mul_f32 v58, v27, v58 :: v_dual_fmac_f32 v7, v17, v21
	v_fmac_f32_e32 v59, v14, v23
	v_dual_fmac_f32 v60, v6, v27 :: v_dual_fmac_f32 v61, v19, v25
	v_fma_f32 v21, v14, v22, -v50
	v_fma_f32 v19, v19, v24, -v53
	;; [unrolled: 1-line block ×4, first 2 shown]
	s_wait_loadcnt 0x3
	v_mul_f32_e32 v20, v28, v48
	s_wait_loadcnt 0x2
	v_mul_f32_e32 v23, v32, v52
	v_mul_f32_e32 v24, v33, v52
	v_dual_mul_f32 v26, v29, v48 :: v_dual_sub_f32 v49, v60, v61
	v_sub_f32_e32 v48, v7, v59
	v_dual_sub_f32 v50, v21, v19 :: v_dual_add_f32 v53, v59, v61
	v_sub_f32_e32 v52, v14, v17
	s_wait_dscnt 0x1
	v_mul_f32_e32 v22, v30, v55
	s_wait_dscnt 0x0
	v_dual_mul_f32 v25, v34, v57 :: v_dual_mul_f32 v6, v31, v55
	v_mul_f32_e32 v27, v35, v57
	v_sub_f32_e32 v55, v14, v21
	v_sub_f32_e32 v57, v17, v19
	v_dual_add_f32 v58, v21, v19 :: v_dual_sub_f32 v63, v59, v61
	v_dual_sub_f32 v62, v7, v60 :: v_dual_sub_f32 v67, v21, v14
	v_dual_sub_f32 v64, v59, v7 :: v_dual_sub_f32 v65, v61, v60
	v_dual_add_f32 v66, v7, v60 :: v_dual_add_f32 v69, v14, v17
	v_dual_sub_f32 v68, v19, v17 :: v_dual_add_f32 v71, v8, v14
	v_dual_add_f32 v70, v7, v0 :: v_dual_fmac_f32 v23, v18, v33
	v_dual_fmac_f32 v20, v16, v29 :: v_dual_fmac_f32 v25, v11, v35
	s_wait_loadcnt 0x0
	v_dual_fmac_f32 v22, v13, v31 :: v_dual_mul_f32 v31, v46, v56
	v_fma_f32 v29, v13, v30, -v6
	v_fma_f32 v24, v18, v32, -v24
	;; [unrolled: 1-line block ×4, first 2 shown]
	v_dual_mul_f32 v18, v9, v41 :: v_dual_mul_f32 v11, v43, v54
	v_dual_mul_f32 v26, v42, v54 :: v_dual_mul_f32 v33, v47, v56
	v_dual_mul_f32 v32, v44, v51 :: v_dual_add_f32 v35, v55, v57
	v_mul_f32_e32 v28, v45, v51
	v_mul_f32_e32 v30, v1, v41
	v_add_f32_e32 v34, v48, v49
	v_fma_f32 v7, -0.5, v53, v0
	v_sub_f32_e32 v53, v25, v23
	v_fma_f32 v6, -0.5, v58, v8
	v_add_f32_e32 v41, v64, v65
	v_fma_f32 v14, -0.5, v66, v0
	v_dual_add_f32 v48, v67, v68 :: v_dual_sub_f32 v51, v20, v22
	v_fma_f32 v13, -0.5, v69, v8
	v_add_f32_e32 v49, v59, v70
	v_dual_add_f32 v21, v71, v21 :: v_dual_sub_f32 v54, v29, v24
	v_dual_sub_f32 v55, v16, v27 :: v_dual_sub_f32 v58, v27, v24
	v_dual_add_f32 v56, v22, v23 :: v_dual_sub_f32 v57, v16, v29
	v_dual_add_f32 v59, v29, v24 :: v_dual_sub_f32 v64, v20, v25
	v_dual_sub_f32 v65, v22, v23 :: v_dual_add_f32 v68, v20, v25
	v_dual_sub_f32 v66, v22, v20 :: v_dual_sub_f32 v67, v23, v25
	v_dual_sub_f32 v69, v29, v16 :: v_dual_sub_f32 v70, v24, v27
	v_dual_add_f32 v71, v16, v27 :: v_dual_add_f32 v72, v5, v16
	v_add_f32_e32 v20, v20, v39
	v_dual_fmac_f32 v18, v1, v40 :: v_dual_fmac_f32 v31, v10, v47
	v_fmac_f32_e32 v26, v12, v43
	v_dual_fmac_f32 v32, v15, v45 :: v_dual_fmamk_f32 v1, v52, 0x3f737871, v7
	v_fma_f32 v12, v12, v42, -v11
	v_fma_f32 v42, v15, v44, -v28
	;; [unrolled: 1-line block ×4, first 2 shown]
	v_dual_fmamk_f32 v0, v62, 0xbf737871, v6 :: v_dual_add_f32 v19, v21, v19
	v_fmamk_f32 v9, v50, 0x3f737871, v14
	v_dual_fmamk_f32 v8, v63, 0xbf737871, v13 :: v_dual_add_f32 v43, v57, v58
	v_fmac_f32_e32 v7, 0xbf737871, v52
	v_dual_fmac_f32 v6, 0x3f737871, v62 :: v_dual_fmac_f32 v13, 0x3f737871, v63
	v_add_f32_e32 v30, v61, v49
	v_dual_fmac_f32 v14, 0xbf737871, v50 :: v_dual_add_f32 v29, v72, v29
	v_add_f32_e32 v40, v51, v53
	v_fma_f32 v11, -0.5, v56, v39
	v_fma_f32 v10, -0.5, v59, v5
	v_dual_add_f32 v44, v66, v67 :: v_dual_sub_f32 v47, v12, v42
	v_fma_f32 v16, -0.5, v68, v39
	v_add_f32_e32 v39, v69, v70
	v_fma_f32 v15, -0.5, v71, v5
	v_add_f32_e32 v5, v22, v20
	v_dual_sub_f32 v49, v28, v33 :: v_dual_sub_f32 v56, v33, v42
	v_dual_add_f32 v51, v26, v32 :: v_dual_sub_f32 v66, v32, v31
	v_dual_sub_f32 v53, v28, v12 :: v_dual_sub_f32 v58, v18, v31
	v_dual_add_f32 v57, v12, v42 :: v_dual_fmac_f32 v0, 0xbf167918, v63
	v_dual_sub_f32 v59, v26, v32 :: v_dual_add_f32 v70, v28, v33
	v_dual_sub_f32 v61, v26, v18 :: v_dual_sub_f32 v68, v12, v28
	v_dual_add_f32 v67, v18, v31 :: v_dual_add_f32 v28, v4, v28
	v_dual_add_f32 v71, v18, v38 :: v_dual_fmac_f32 v6, 0x3f167918, v63
	v_dual_sub_f32 v45, v18, v26 :: v_dual_sub_f32 v46, v31, v32
	v_dual_fmac_f32 v9, 0xbf167918, v52 :: v_dual_add_f32 v18, v60, v30
	v_dual_fmac_f32 v7, 0xbf167918, v50 :: v_dual_add_f32 v30, v23, v5
	v_fmac_f32_e32 v13, 0xbf167918, v62
	v_fmamk_f32 v22, v54, 0xbf737871, v16
	v_dual_fmamk_f32 v21, v65, 0x3f737871, v15 :: v_dual_fmac_f32 v16, 0x3f737871, v54
	v_dual_add_f32 v29, v29, v24 :: v_dual_fmac_f32 v0, 0x3e9e377a, v35
	v_fma_f32 v24, -0.5, v51, v38
	v_fma_f32 v23, -0.5, v57, v4
	;; [unrolled: 1-line block ×4, first 2 shown]
	v_dual_add_f32 v51, v26, v71 :: v_dual_add_f32 v12, v28, v12
	v_dual_sub_f32 v69, v42, v33 :: v_dual_fmac_f32 v8, 0x3f167918, v62
	v_dual_add_f32 v17, v17, v19 :: v_dual_fmamk_f32 v20, v55, 0x3f737871, v11
	v_fmamk_f32 v19, v64, 0xbf737871, v10
	v_fmac_f32_e32 v15, 0xbf737871, v65
	s_delay_alu instid0(VALU_DEP_4)
	v_dual_fmac_f32 v11, 0xbf737871, v55 :: v_dual_add_f32 v38, v68, v69
	v_dual_fmac_f32 v10, 0x3f737871, v64 :: v_dual_add_f32 v45, v45, v46
	v_add_f32_e32 v46, v53, v56
	v_dual_fmac_f32 v13, 0x3e9e377a, v48 :: v_dual_add_f32 v26, v25, v30
	v_dual_fmac_f32 v22, 0x3f167918, v55 :: v_dual_add_f32 v25, v27, v29
	;; [unrolled: 1-line block ×3, first 2 shown]
	v_dual_fmamk_f32 v29, v59, 0xbf737871, v4 :: v_dual_add_f32 v12, v12, v42
	v_fmamk_f32 v30, v47, 0x3f737871, v5
	v_fmamk_f32 v28, v49, 0x3f737871, v24
	v_dual_fmamk_f32 v27, v58, 0xbf737871, v23 :: v_dual_fmac_f32 v24, 0xbf737871, v49
	v_fmac_f32_e32 v23, 0x3f737871, v58
	v_dual_fmac_f32 v5, 0xbf737871, v47 :: v_dual_add_f32 v32, v31, v32
	v_fmac_f32_e32 v4, 0x3f737871, v59
	v_dual_fmac_f32 v1, 0x3f167918, v50 :: v_dual_fmac_f32 v14, 0x3f167918, v52
	v_add_f32_e32 v50, v61, v66
	v_dual_fmac_f32 v10, 0x3f167918, v65 :: v_dual_fmac_f32 v29, 0x3f167918, v58
	v_add_f32_e32 v31, v33, v12
	v_dual_fmac_f32 v11, 0xbf167918, v54 :: v_dual_fmac_f32 v30, 0xbf167918, v49
	v_fmac_f32_e32 v24, 0xbf167918, v47
	v_dual_fmac_f32 v23, 0x3f167918, v59 :: v_dual_fmac_f32 v20, 0x3f167918, v54
	v_fmac_f32_e32 v15, 0x3f167918, v64
	v_dual_fmac_f32 v19, 0xbf167918, v65 :: v_dual_fmac_f32 v16, 0xbf167918, v55
	v_dual_fmac_f32 v28, 0x3f167918, v47 :: v_dual_fmac_f32 v5, 0x3f167918, v49
	;; [unrolled: 1-line block ×3, first 2 shown]
	v_fmac_f32_e32 v30, 0x3e9e377a, v50
	v_dual_fmac_f32 v29, 0x3e9e377a, v38 :: v_dual_fmac_f32 v24, 0x3e9e377a, v45
	v_add_co_u32 v36, vcc_lo, v2, v36
	v_fmac_f32_e32 v23, 0x3e9e377a, v46
	v_dual_fmac_f32 v11, 0x3e9e377a, v40 :: v_dual_fmac_f32 v10, 0x3e9e377a, v43
	s_wait_alu 0xfffd
	v_add_co_ci_u32_e32 v37, vcc_lo, v3, v37, vcc_lo
	v_dual_fmac_f32 v1, 0x3e9e377a, v34 :: v_dual_fmac_f32 v8, 0x3e9e377a, v48
	v_dual_fmac_f32 v9, 0x3e9e377a, v41 :: v_dual_fmac_f32 v6, 0x3e9e377a, v35
	;; [unrolled: 1-line block ×7, first 2 shown]
	v_fmac_f32_e32 v5, 0x3e9e377a, v50
	v_fmac_f32_e32 v4, 0x3e9e377a, v38
	s_clause 0xe
	global_store_b64 v[2:3], v[31:32], off
	global_store_b64 v[2:3], v[29:30], off offset:6048
	global_store_b64 v[2:3], v[25:26], off offset:1008
	;; [unrolled: 1-line block ×14, first 2 shown]
.LBB0_27:
	s_nop 0
	s_sendmsg sendmsg(MSG_DEALLOC_VGPRS)
	s_endpgm
	.section	.rodata,"a",@progbits
	.p2align	6, 0x0
	.amdhsa_kernel fft_rtc_fwd_len1890_factors_2_3_3_3_7_5_wgs_126_tpt_126_halfLds_sp_ip_CI_unitstride_sbrr_dirReg
		.amdhsa_group_segment_fixed_size 0
		.amdhsa_private_segment_fixed_size 0
		.amdhsa_kernarg_size 88
		.amdhsa_user_sgpr_count 2
		.amdhsa_user_sgpr_dispatch_ptr 0
		.amdhsa_user_sgpr_queue_ptr 0
		.amdhsa_user_sgpr_kernarg_segment_ptr 1
		.amdhsa_user_sgpr_dispatch_id 0
		.amdhsa_user_sgpr_private_segment_size 0
		.amdhsa_wavefront_size32 1
		.amdhsa_uses_dynamic_stack 0
		.amdhsa_enable_private_segment 0
		.amdhsa_system_sgpr_workgroup_id_x 1
		.amdhsa_system_sgpr_workgroup_id_y 0
		.amdhsa_system_sgpr_workgroup_id_z 0
		.amdhsa_system_sgpr_workgroup_info 0
		.amdhsa_system_vgpr_workitem_id 0
		.amdhsa_next_free_vgpr 96
		.amdhsa_next_free_sgpr 32
		.amdhsa_reserve_vcc 1
		.amdhsa_float_round_mode_32 0
		.amdhsa_float_round_mode_16_64 0
		.amdhsa_float_denorm_mode_32 3
		.amdhsa_float_denorm_mode_16_64 3
		.amdhsa_fp16_overflow 0
		.amdhsa_workgroup_processor_mode 1
		.amdhsa_memory_ordered 1
		.amdhsa_forward_progress 0
		.amdhsa_round_robin_scheduling 0
		.amdhsa_exception_fp_ieee_invalid_op 0
		.amdhsa_exception_fp_denorm_src 0
		.amdhsa_exception_fp_ieee_div_zero 0
		.amdhsa_exception_fp_ieee_overflow 0
		.amdhsa_exception_fp_ieee_underflow 0
		.amdhsa_exception_fp_ieee_inexact 0
		.amdhsa_exception_int_div_zero 0
	.end_amdhsa_kernel
	.text
.Lfunc_end0:
	.size	fft_rtc_fwd_len1890_factors_2_3_3_3_7_5_wgs_126_tpt_126_halfLds_sp_ip_CI_unitstride_sbrr_dirReg, .Lfunc_end0-fft_rtc_fwd_len1890_factors_2_3_3_3_7_5_wgs_126_tpt_126_halfLds_sp_ip_CI_unitstride_sbrr_dirReg
                                        ; -- End function
	.section	.AMDGPU.csdata,"",@progbits
; Kernel info:
; codeLenInByte = 11240
; NumSgprs: 34
; NumVgprs: 96
; ScratchSize: 0
; MemoryBound: 0
; FloatMode: 240
; IeeeMode: 1
; LDSByteSize: 0 bytes/workgroup (compile time only)
; SGPRBlocks: 4
; VGPRBlocks: 11
; NumSGPRsForWavesPerEU: 34
; NumVGPRsForWavesPerEU: 96
; Occupancy: 16
; WaveLimiterHint : 1
; COMPUTE_PGM_RSRC2:SCRATCH_EN: 0
; COMPUTE_PGM_RSRC2:USER_SGPR: 2
; COMPUTE_PGM_RSRC2:TRAP_HANDLER: 0
; COMPUTE_PGM_RSRC2:TGID_X_EN: 1
; COMPUTE_PGM_RSRC2:TGID_Y_EN: 0
; COMPUTE_PGM_RSRC2:TGID_Z_EN: 0
; COMPUTE_PGM_RSRC2:TIDIG_COMP_CNT: 0
	.text
	.p2alignl 7, 3214868480
	.fill 96, 4, 3214868480
	.type	__hip_cuid_e6692ff8712d314b,@object ; @__hip_cuid_e6692ff8712d314b
	.section	.bss,"aw",@nobits
	.globl	__hip_cuid_e6692ff8712d314b
__hip_cuid_e6692ff8712d314b:
	.byte	0                               ; 0x0
	.size	__hip_cuid_e6692ff8712d314b, 1

	.ident	"AMD clang version 19.0.0git (https://github.com/RadeonOpenCompute/llvm-project roc-6.4.0 25133 c7fe45cf4b819c5991fe208aaa96edf142730f1d)"
	.section	".note.GNU-stack","",@progbits
	.addrsig
	.addrsig_sym __hip_cuid_e6692ff8712d314b
	.amdgpu_metadata
---
amdhsa.kernels:
  - .args:
      - .actual_access:  read_only
        .address_space:  global
        .offset:         0
        .size:           8
        .value_kind:     global_buffer
      - .offset:         8
        .size:           8
        .value_kind:     by_value
      - .actual_access:  read_only
        .address_space:  global
        .offset:         16
        .size:           8
        .value_kind:     global_buffer
      - .actual_access:  read_only
        .address_space:  global
        .offset:         24
        .size:           8
        .value_kind:     global_buffer
      - .offset:         32
        .size:           8
        .value_kind:     by_value
      - .actual_access:  read_only
        .address_space:  global
        .offset:         40
        .size:           8
        .value_kind:     global_buffer
      - .actual_access:  read_only
        .address_space:  global
        .offset:         48
        .size:           8
        .value_kind:     global_buffer
      - .offset:         56
        .size:           4
        .value_kind:     by_value
      - .actual_access:  read_only
        .address_space:  global
        .offset:         64
        .size:           8
        .value_kind:     global_buffer
      - .actual_access:  read_only
        .address_space:  global
        .offset:         72
        .size:           8
        .value_kind:     global_buffer
      - .address_space:  global
        .offset:         80
        .size:           8
        .value_kind:     global_buffer
    .group_segment_fixed_size: 0
    .kernarg_segment_align: 8
    .kernarg_segment_size: 88
    .language:       OpenCL C
    .language_version:
      - 2
      - 0
    .max_flat_workgroup_size: 126
    .name:           fft_rtc_fwd_len1890_factors_2_3_3_3_7_5_wgs_126_tpt_126_halfLds_sp_ip_CI_unitstride_sbrr_dirReg
    .private_segment_fixed_size: 0
    .sgpr_count:     34
    .sgpr_spill_count: 0
    .symbol:         fft_rtc_fwd_len1890_factors_2_3_3_3_7_5_wgs_126_tpt_126_halfLds_sp_ip_CI_unitstride_sbrr_dirReg.kd
    .uniform_work_group_size: 1
    .uses_dynamic_stack: false
    .vgpr_count:     96
    .vgpr_spill_count: 0
    .wavefront_size: 32
    .workgroup_processor_mode: 1
amdhsa.target:   amdgcn-amd-amdhsa--gfx1201
amdhsa.version:
  - 1
  - 2
...

	.end_amdgpu_metadata
